;; amdgpu-corpus repo=ROCm/rocFFT kind=compiled arch=gfx1201 opt=O3
	.text
	.amdgcn_target "amdgcn-amd-amdhsa--gfx1201"
	.amdhsa_code_object_version 6
	.protected	fft_rtc_back_len1071_factors_17_7_9_wgs_119_tpt_119_halfLds_half_op_CI_CI_unitstride_sbrr_dirReg ; -- Begin function fft_rtc_back_len1071_factors_17_7_9_wgs_119_tpt_119_halfLds_half_op_CI_CI_unitstride_sbrr_dirReg
	.globl	fft_rtc_back_len1071_factors_17_7_9_wgs_119_tpt_119_halfLds_half_op_CI_CI_unitstride_sbrr_dirReg
	.p2align	8
	.type	fft_rtc_back_len1071_factors_17_7_9_wgs_119_tpt_119_halfLds_half_op_CI_CI_unitstride_sbrr_dirReg,@function
fft_rtc_back_len1071_factors_17_7_9_wgs_119_tpt_119_halfLds_half_op_CI_CI_unitstride_sbrr_dirReg: ; @fft_rtc_back_len1071_factors_17_7_9_wgs_119_tpt_119_halfLds_half_op_CI_CI_unitstride_sbrr_dirReg
; %bb.0:
	s_clause 0x2
	s_load_b128 s[8:11], s[0:1], 0x0
	s_load_b128 s[4:7], s[0:1], 0x58
	;; [unrolled: 1-line block ×3, first 2 shown]
	v_mul_u32_u24_e32 v1, 0x227, v0
	v_mov_b32_e32 v3, 0
	s_delay_alu instid0(VALU_DEP_2) | instskip(NEXT) | instid1(VALU_DEP_1)
	v_lshrrev_b32_e32 v1, 16, v1
	v_add_nc_u32_e32 v5, ttmp9, v1
	v_mov_b32_e32 v1, 0
	v_mov_b32_e32 v2, 0
	;; [unrolled: 1-line block ×3, first 2 shown]
	s_wait_kmcnt 0x0
	v_cmp_lt_u64_e64 s2, s[10:11], 2
	s_delay_alu instid0(VALU_DEP_1)
	s_and_b32 vcc_lo, exec_lo, s2
	s_cbranch_vccnz .LBB0_8
; %bb.1:
	s_load_b64 s[2:3], s[0:1], 0x10
	v_mov_b32_e32 v1, 0
	v_mov_b32_e32 v2, 0
	s_add_nc_u64 s[16:17], s[14:15], 8
	s_add_nc_u64 s[18:19], s[12:13], 8
	s_mov_b64 s[20:21], 1
	s_delay_alu instid0(VALU_DEP_1)
	v_dual_mov_b32 v9, v2 :: v_dual_mov_b32 v8, v1
	s_wait_kmcnt 0x0
	s_add_nc_u64 s[22:23], s[2:3], 8
	s_mov_b32 s3, 0
.LBB0_2:                                ; =>This Inner Loop Header: Depth=1
	s_load_b64 s[24:25], s[22:23], 0x0
                                        ; implicit-def: $vgpr10_vgpr11
	s_mov_b32 s2, exec_lo
	s_wait_kmcnt 0x0
	v_or_b32_e32 v4, s25, v6
	s_delay_alu instid0(VALU_DEP_1)
	v_cmpx_ne_u64_e32 0, v[3:4]
	s_wait_alu 0xfffe
	s_xor_b32 s26, exec_lo, s2
	s_cbranch_execz .LBB0_4
; %bb.3:                                ;   in Loop: Header=BB0_2 Depth=1
	s_cvt_f32_u32 s2, s24
	s_cvt_f32_u32 s27, s25
	s_sub_nc_u64 s[30:31], 0, s[24:25]
	s_wait_alu 0xfffe
	s_delay_alu instid0(SALU_CYCLE_1) | instskip(SKIP_1) | instid1(SALU_CYCLE_2)
	s_fmamk_f32 s2, s27, 0x4f800000, s2
	s_wait_alu 0xfffe
	v_s_rcp_f32 s2, s2
	s_delay_alu instid0(TRANS32_DEP_1) | instskip(SKIP_1) | instid1(SALU_CYCLE_2)
	s_mul_f32 s2, s2, 0x5f7ffffc
	s_wait_alu 0xfffe
	s_mul_f32 s27, s2, 0x2f800000
	s_wait_alu 0xfffe
	s_delay_alu instid0(SALU_CYCLE_2) | instskip(SKIP_1) | instid1(SALU_CYCLE_2)
	s_trunc_f32 s27, s27
	s_wait_alu 0xfffe
	s_fmamk_f32 s2, s27, 0xcf800000, s2
	s_cvt_u32_f32 s29, s27
	s_wait_alu 0xfffe
	s_delay_alu instid0(SALU_CYCLE_1) | instskip(SKIP_1) | instid1(SALU_CYCLE_2)
	s_cvt_u32_f32 s28, s2
	s_wait_alu 0xfffe
	s_mul_u64 s[34:35], s[30:31], s[28:29]
	s_wait_alu 0xfffe
	s_mul_hi_u32 s37, s28, s35
	s_mul_i32 s36, s28, s35
	s_mul_hi_u32 s2, s28, s34
	s_mul_i32 s33, s29, s34
	s_wait_alu 0xfffe
	s_add_nc_u64 s[36:37], s[2:3], s[36:37]
	s_mul_hi_u32 s27, s29, s34
	s_mul_hi_u32 s38, s29, s35
	s_add_co_u32 s2, s36, s33
	s_wait_alu 0xfffe
	s_add_co_ci_u32 s2, s37, s27
	s_mul_i32 s34, s29, s35
	s_add_co_ci_u32 s35, s38, 0
	s_wait_alu 0xfffe
	s_add_nc_u64 s[34:35], s[2:3], s[34:35]
	s_wait_alu 0xfffe
	v_add_co_u32 v4, s2, s28, s34
	s_delay_alu instid0(VALU_DEP_1) | instskip(SKIP_1) | instid1(VALU_DEP_1)
	s_cmp_lg_u32 s2, 0
	s_add_co_ci_u32 s29, s29, s35
	v_readfirstlane_b32 s28, v4
	s_wait_alu 0xfffe
	s_delay_alu instid0(VALU_DEP_1)
	s_mul_u64 s[30:31], s[30:31], s[28:29]
	s_wait_alu 0xfffe
	s_mul_hi_u32 s35, s28, s31
	s_mul_i32 s34, s28, s31
	s_mul_hi_u32 s2, s28, s30
	s_mul_i32 s33, s29, s30
	s_wait_alu 0xfffe
	s_add_nc_u64 s[34:35], s[2:3], s[34:35]
	s_mul_hi_u32 s27, s29, s30
	s_mul_hi_u32 s28, s29, s31
	s_wait_alu 0xfffe
	s_add_co_u32 s2, s34, s33
	s_add_co_ci_u32 s2, s35, s27
	s_mul_i32 s30, s29, s31
	s_add_co_ci_u32 s31, s28, 0
	s_wait_alu 0xfffe
	s_add_nc_u64 s[30:31], s[2:3], s[30:31]
	s_wait_alu 0xfffe
	v_add_co_u32 v4, s2, v4, s30
	s_delay_alu instid0(VALU_DEP_1) | instskip(SKIP_1) | instid1(VALU_DEP_1)
	s_cmp_lg_u32 s2, 0
	s_add_co_ci_u32 s2, s29, s31
	v_mul_hi_u32 v7, v5, v4
	s_wait_alu 0xfffe
	v_mad_co_u64_u32 v[10:11], null, v5, s2, 0
	v_mad_co_u64_u32 v[12:13], null, v6, v4, 0
	;; [unrolled: 1-line block ×3, first 2 shown]
	s_delay_alu instid0(VALU_DEP_3) | instskip(SKIP_1) | instid1(VALU_DEP_4)
	v_add_co_u32 v4, vcc_lo, v7, v10
	s_wait_alu 0xfffd
	v_add_co_ci_u32_e32 v7, vcc_lo, 0, v11, vcc_lo
	s_delay_alu instid0(VALU_DEP_2) | instskip(SKIP_1) | instid1(VALU_DEP_2)
	v_add_co_u32 v4, vcc_lo, v4, v12
	s_wait_alu 0xfffd
	v_add_co_ci_u32_e32 v4, vcc_lo, v7, v13, vcc_lo
	s_wait_alu 0xfffd
	v_add_co_ci_u32_e32 v7, vcc_lo, 0, v15, vcc_lo
	s_delay_alu instid0(VALU_DEP_2) | instskip(SKIP_1) | instid1(VALU_DEP_2)
	v_add_co_u32 v4, vcc_lo, v4, v14
	s_wait_alu 0xfffd
	v_add_co_ci_u32_e32 v7, vcc_lo, 0, v7, vcc_lo
	s_delay_alu instid0(VALU_DEP_2) | instskip(SKIP_1) | instid1(VALU_DEP_3)
	v_mul_lo_u32 v12, s25, v4
	v_mad_co_u64_u32 v[10:11], null, s24, v4, 0
	v_mul_lo_u32 v13, s24, v7
	s_delay_alu instid0(VALU_DEP_2) | instskip(NEXT) | instid1(VALU_DEP_2)
	v_sub_co_u32 v10, vcc_lo, v5, v10
	v_add3_u32 v11, v11, v13, v12
	s_delay_alu instid0(VALU_DEP_1) | instskip(SKIP_1) | instid1(VALU_DEP_1)
	v_sub_nc_u32_e32 v12, v6, v11
	s_wait_alu 0xfffd
	v_subrev_co_ci_u32_e64 v12, s2, s25, v12, vcc_lo
	v_add_co_u32 v13, s2, v4, 2
	s_wait_alu 0xf1ff
	v_add_co_ci_u32_e64 v14, s2, 0, v7, s2
	v_sub_co_u32 v15, s2, v10, s24
	v_sub_co_ci_u32_e32 v11, vcc_lo, v6, v11, vcc_lo
	s_wait_alu 0xf1ff
	v_subrev_co_ci_u32_e64 v12, s2, 0, v12, s2
	s_delay_alu instid0(VALU_DEP_3) | instskip(NEXT) | instid1(VALU_DEP_3)
	v_cmp_le_u32_e32 vcc_lo, s24, v15
	v_cmp_eq_u32_e64 s2, s25, v11
	s_wait_alu 0xfffd
	v_cndmask_b32_e64 v15, 0, -1, vcc_lo
	v_cmp_le_u32_e32 vcc_lo, s25, v12
	s_wait_alu 0xfffd
	v_cndmask_b32_e64 v16, 0, -1, vcc_lo
	v_cmp_le_u32_e32 vcc_lo, s24, v10
	;; [unrolled: 3-line block ×3, first 2 shown]
	s_wait_alu 0xfffd
	v_cndmask_b32_e64 v17, 0, -1, vcc_lo
	v_cmp_eq_u32_e32 vcc_lo, s25, v12
	s_wait_alu 0xf1ff
	s_delay_alu instid0(VALU_DEP_2)
	v_cndmask_b32_e64 v10, v17, v10, s2
	s_wait_alu 0xfffd
	v_cndmask_b32_e32 v12, v16, v15, vcc_lo
	v_add_co_u32 v15, vcc_lo, v4, 1
	s_wait_alu 0xfffd
	v_add_co_ci_u32_e32 v16, vcc_lo, 0, v7, vcc_lo
	s_delay_alu instid0(VALU_DEP_3) | instskip(SKIP_1) | instid1(VALU_DEP_2)
	v_cmp_ne_u32_e32 vcc_lo, 0, v12
	s_wait_alu 0xfffd
	v_dual_cndmask_b32 v11, v16, v14 :: v_dual_cndmask_b32 v12, v15, v13
	v_cmp_ne_u32_e32 vcc_lo, 0, v10
	s_wait_alu 0xfffd
	s_delay_alu instid0(VALU_DEP_2)
	v_dual_cndmask_b32 v11, v7, v11 :: v_dual_cndmask_b32 v10, v4, v12
.LBB0_4:                                ;   in Loop: Header=BB0_2 Depth=1
	s_wait_alu 0xfffe
	s_and_not1_saveexec_b32 s2, s26
	s_cbranch_execz .LBB0_6
; %bb.5:                                ;   in Loop: Header=BB0_2 Depth=1
	v_cvt_f32_u32_e32 v4, s24
	s_sub_co_i32 s26, 0, s24
	s_delay_alu instid0(VALU_DEP_1) | instskip(NEXT) | instid1(TRANS32_DEP_1)
	v_rcp_iflag_f32_e32 v4, v4
	v_mul_f32_e32 v4, 0x4f7ffffe, v4
	s_delay_alu instid0(VALU_DEP_1) | instskip(SKIP_1) | instid1(VALU_DEP_1)
	v_cvt_u32_f32_e32 v4, v4
	s_wait_alu 0xfffe
	v_mul_lo_u32 v7, s26, v4
	s_delay_alu instid0(VALU_DEP_1) | instskip(NEXT) | instid1(VALU_DEP_1)
	v_mul_hi_u32 v7, v4, v7
	v_add_nc_u32_e32 v4, v4, v7
	s_delay_alu instid0(VALU_DEP_1) | instskip(NEXT) | instid1(VALU_DEP_1)
	v_mul_hi_u32 v4, v5, v4
	v_mul_lo_u32 v7, v4, s24
	v_add_nc_u32_e32 v10, 1, v4
	s_delay_alu instid0(VALU_DEP_2) | instskip(NEXT) | instid1(VALU_DEP_1)
	v_sub_nc_u32_e32 v7, v5, v7
	v_subrev_nc_u32_e32 v11, s24, v7
	v_cmp_le_u32_e32 vcc_lo, s24, v7
	s_wait_alu 0xfffd
	s_delay_alu instid0(VALU_DEP_2) | instskip(SKIP_1) | instid1(VALU_DEP_2)
	v_cndmask_b32_e32 v7, v7, v11, vcc_lo
	v_dual_mov_b32 v11, v3 :: v_dual_cndmask_b32 v4, v4, v10
	v_cmp_le_u32_e32 vcc_lo, s24, v7
	s_delay_alu instid0(VALU_DEP_2) | instskip(SKIP_1) | instid1(VALU_DEP_1)
	v_add_nc_u32_e32 v10, 1, v4
	s_wait_alu 0xfffd
	v_cndmask_b32_e32 v10, v4, v10, vcc_lo
.LBB0_6:                                ;   in Loop: Header=BB0_2 Depth=1
	s_wait_alu 0xfffe
	s_or_b32 exec_lo, exec_lo, s2
	v_mul_lo_u32 v4, v11, s24
	s_delay_alu instid0(VALU_DEP_2)
	v_mul_lo_u32 v7, v10, s25
	s_load_b64 s[26:27], s[18:19], 0x0
	v_mad_co_u64_u32 v[12:13], null, v10, s24, 0
	s_load_b64 s[24:25], s[16:17], 0x0
	s_add_nc_u64 s[20:21], s[20:21], 1
	s_add_nc_u64 s[16:17], s[16:17], 8
	s_wait_alu 0xfffe
	v_cmp_ge_u64_e64 s2, s[20:21], s[10:11]
	s_add_nc_u64 s[18:19], s[18:19], 8
	s_add_nc_u64 s[22:23], s[22:23], 8
	v_add3_u32 v4, v13, v7, v4
	v_sub_co_u32 v5, vcc_lo, v5, v12
	s_wait_alu 0xfffd
	s_delay_alu instid0(VALU_DEP_2) | instskip(SKIP_2) | instid1(VALU_DEP_1)
	v_sub_co_ci_u32_e32 v4, vcc_lo, v6, v4, vcc_lo
	s_and_b32 vcc_lo, exec_lo, s2
	s_wait_kmcnt 0x0
	v_mul_lo_u32 v6, s26, v4
	v_mul_lo_u32 v7, s27, v5
	v_mad_co_u64_u32 v[1:2], null, s26, v5, v[1:2]
	v_mul_lo_u32 v4, s24, v4
	v_mul_lo_u32 v12, s25, v5
	v_mad_co_u64_u32 v[8:9], null, s24, v5, v[8:9]
	s_delay_alu instid0(VALU_DEP_4) | instskip(NEXT) | instid1(VALU_DEP_2)
	v_add3_u32 v2, v7, v2, v6
	v_add3_u32 v9, v12, v9, v4
	s_wait_alu 0xfffe
	s_cbranch_vccnz .LBB0_9
; %bb.7:                                ;   in Loop: Header=BB0_2 Depth=1
	v_dual_mov_b32 v5, v10 :: v_dual_mov_b32 v6, v11
	s_branch .LBB0_2
.LBB0_8:
	v_dual_mov_b32 v9, v2 :: v_dual_mov_b32 v8, v1
	v_dual_mov_b32 v11, v6 :: v_dual_mov_b32 v10, v5
.LBB0_9:
	s_load_b64 s[0:1], s[0:1], 0x28
	s_lshl_b64 s[10:11], s[10:11], 3
	v_mul_hi_u32 v3, 0x226b903, v0
	s_wait_alu 0xfffe
	s_add_nc_u64 s[2:3], s[14:15], s[10:11]
	v_dual_mov_b32 v4, 0 :: v_dual_mov_b32 v13, 0
	s_load_b64 s[2:3], s[2:3], 0x0
                                        ; implicit-def: $vgpr30
                                        ; implicit-def: $vgpr40
                                        ; implicit-def: $vgpr29
                                        ; implicit-def: $vgpr39
                                        ; implicit-def: $vgpr28
                                        ; implicit-def: $vgpr38
                                        ; implicit-def: $vgpr27
                                        ; implicit-def: $vgpr37
                                        ; implicit-def: $vgpr26
                                        ; implicit-def: $vgpr36
                                        ; implicit-def: $vgpr25
                                        ; implicit-def: $vgpr33
                                        ; implicit-def: $vgpr24
                                        ; implicit-def: $vgpr32
                                        ; implicit-def: $vgpr23
                                        ; implicit-def: $vgpr7
                                        ; implicit-def: $vgpr22
                                        ; implicit-def: $vgpr31
                                        ; implicit-def: $vgpr20
                                        ; implicit-def: $vgpr35
                                        ; implicit-def: $vgpr5
                                        ; implicit-def: $vgpr50
                                        ; implicit-def: $vgpr6
                                        ; implicit-def: $vgpr49
                                        ; implicit-def: $vgpr17
                                        ; implicit-def: $vgpr48
                                        ; implicit-def: $vgpr18
                                        ; implicit-def: $vgpr42
                                        ; implicit-def: $vgpr19
                                        ; implicit-def: $vgpr41
                                        ; implicit-def: $vgpr21
                                        ; implicit-def: $vgpr34
	s_delay_alu instid0(VALU_DEP_2) | instskip(NEXT) | instid1(VALU_DEP_1)
	v_mul_u32_u24_e32 v3, 0x77, v3
	v_sub_nc_u32_e32 v12, v0, v3
	v_mov_b32_e32 v0, 0
	s_wait_kmcnt 0x0
	v_cmp_gt_u64_e32 vcc_lo, s[0:1], v[10:11]
	s_and_saveexec_b32 s1, vcc_lo
	s_cbranch_execz .LBB0_13
; %bb.10:
	v_cmp_gt_u32_e64 s0, 63, v12
	v_mov_b32_e32 v0, 0
	v_mov_b32_e32 v4, 0
                                        ; implicit-def: $vgpr34
                                        ; implicit-def: $vgpr21
                                        ; implicit-def: $vgpr41
                                        ; implicit-def: $vgpr19
                                        ; implicit-def: $vgpr42
                                        ; implicit-def: $vgpr18
                                        ; implicit-def: $vgpr48
                                        ; implicit-def: $vgpr17
                                        ; implicit-def: $vgpr49
                                        ; implicit-def: $vgpr6
                                        ; implicit-def: $vgpr50
                                        ; implicit-def: $vgpr5
                                        ; implicit-def: $vgpr35
                                        ; implicit-def: $vgpr20
                                        ; implicit-def: $vgpr31
                                        ; implicit-def: $vgpr22
                                        ; implicit-def: $vgpr7
                                        ; implicit-def: $vgpr23
                                        ; implicit-def: $vgpr32
                                        ; implicit-def: $vgpr24
                                        ; implicit-def: $vgpr33
                                        ; implicit-def: $vgpr25
                                        ; implicit-def: $vgpr36
                                        ; implicit-def: $vgpr26
                                        ; implicit-def: $vgpr37
                                        ; implicit-def: $vgpr27
                                        ; implicit-def: $vgpr38
                                        ; implicit-def: $vgpr28
                                        ; implicit-def: $vgpr39
                                        ; implicit-def: $vgpr29
                                        ; implicit-def: $vgpr40
                                        ; implicit-def: $vgpr30
	s_delay_alu instid0(VALU_DEP_3)
	s_and_saveexec_b32 s14, s0
	s_cbranch_execz .LBB0_12
; %bb.11:
	s_add_nc_u64 s[10:11], s[12:13], s[10:11]
	v_mov_b32_e32 v13, 0
	s_load_b64 s[10:11], s[10:11], 0x0
	s_wait_kmcnt 0x0
	v_mul_lo_u32 v0, s11, v10
	v_mul_lo_u32 v5, s10, v11
	v_mad_co_u64_u32 v[3:4], null, s10, v10, 0
	s_delay_alu instid0(VALU_DEP_1) | instskip(SKIP_1) | instid1(VALU_DEP_2)
	v_add3_u32 v4, v4, v5, v0
	v_lshlrev_b64_e32 v[0:1], 2, v[1:2]
	v_lshlrev_b64_e32 v[3:4], 2, v[3:4]
	s_delay_alu instid0(VALU_DEP_1) | instskip(SKIP_1) | instid1(VALU_DEP_2)
	v_add_co_u32 v5, s0, s4, v3
	s_wait_alu 0xf1ff
	v_add_co_ci_u32_e64 v4, s0, s5, v4, s0
	v_lshlrev_b64_e32 v[2:3], 2, v[12:13]
	s_delay_alu instid0(VALU_DEP_3) | instskip(SKIP_1) | instid1(VALU_DEP_3)
	v_add_co_u32 v0, s0, v5, v0
	s_wait_alu 0xf1ff
	v_add_co_ci_u32_e64 v4, s0, v4, v1, s0
	s_delay_alu instid0(VALU_DEP_2) | instskip(SKIP_1) | instid1(VALU_DEP_2)
	v_add_co_u32 v1, s0, v0, v2
	s_wait_alu 0xf1ff
	v_add_co_ci_u32_e64 v2, s0, v4, v3, s0
	s_clause 0x10
	global_load_b32 v0, v[1:2], off
	global_load_b32 v40, v[1:2], off offset:252
	global_load_b32 v39, v[1:2], off offset:504
	;; [unrolled: 1-line block ×16, first 2 shown]
	s_wait_loadcnt 0x10
	v_lshrrev_b32_e32 v4, 16, v0
	s_wait_loadcnt 0xf
	v_lshrrev_b32_e32 v30, 16, v40
	;; [unrolled: 2-line block ×17, first 2 shown]
.LBB0_12:
	s_or_b32 exec_lo, exec_lo, s14
	v_mov_b32_e32 v13, v12
.LBB0_13:
	s_wait_alu 0xfffe
	s_or_b32 exec_lo, exec_lo, s1
	v_sub_f16_e32 v77, v30, v5
	v_add_f16_e32 v76, v40, v50
	v_sub_f16_e32 v80, v29, v6
	v_add_f16_e32 v79, v39, v49
	v_sub_f16_e32 v82, v28, v17
	v_pk_mul_f16 v67, 0xbbf7ba62, v77 op_sel_hi:[1,0]
	v_add_f16_e32 v81, v38, v48
	v_pk_mul_f16 v66, 0xb1e13bb2, v80 op_sel_hi:[1,0]
	v_sub_f16_e32 v72, v27, v18
	v_pk_mul_f16 v61, 0x3bb2b5c8, v82 op_sel_hi:[1,0]
	v_pk_fma_f16 v1, 0x2de8b8d2, v76, v67 op_sel_hi:[1,0,1] neg_lo:[0,0,1] neg_hi:[0,0,1]
	v_add_f16_e32 v83, v37, v42
	v_pk_fma_f16 v2, 0xbbddb461, v79, v66 op_sel_hi:[1,0,1] neg_lo:[0,0,1] neg_hi:[0,0,1]
	v_sub_f16_e32 v74, v26, v19
	v_pk_mul_f16 v60, 0x35c8b836, v72 op_sel_hi:[1,0]
	v_pk_add_f16 v1, v0, v1 op_sel_hi:[0,1]
	v_add_f16_e32 v78, v36, v41
	v_sub_f16_e32 v73, v25, v20
	v_pk_mul_f16 v55, 0xbb293bf7, v74 op_sel_hi:[1,0]
	v_add_f16_e32 v75, v33, v35
	v_pk_add_f16 v1, v1, v2
	v_pk_fma_f16 v2, 0xb4613b76, v81, v61 op_sel_hi:[1,0,1] neg_lo:[0,0,1] neg_hi:[0,0,1]
	v_pk_mul_f16 v54, 0xb836b964, v73 op_sel_hi:[1,0]
	v_pk_fma_f16 v3, 0x37222de8, v78, v55 op_sel_hi:[1,0,1] neg_lo:[0,0,1] neg_hi:[0,0,1]
	v_sub_f16_e32 v69, v24, v21
	v_add_f16_e32 v70, v32, v34
	v_pk_add_f16 v1, v1, v2
	v_pk_fma_f16 v2, 0x3b76bacd, v83, v60 op_sel_hi:[1,0,1] neg_lo:[0,0,1] neg_hi:[0,0,1]
	v_pk_fma_f16 v14, 0xbacd39e9, v75, v54 op_sel_hi:[1,0,1] neg_lo:[0,0,1] neg_hi:[0,0,1]
	v_pk_mul_f16 v15, 0xbbddbacd, v76 op_sel_hi:[1,0]
	v_pk_mul_f16 v16, 0xb1e1b836, v77 op_sel_hi:[1,0]
	;; [unrolled: 1-line block ×3, first 2 shown]
	v_pk_add_f16 v2, v1, v2
	v_pk_mul_f16 v87, 0x35c83b29, v80 op_sel_hi:[1,0]
	v_lshrrev_b32_e32 v85, 16, v15
	v_lshrrev_b32_e32 v84, 16, v16
	;; [unrolled: 1-line block ×3, first 2 shown]
	v_pk_add_f16 v3, v2, v3
	v_pk_mul_f16 v2, 0x3a62b1e1, v69 op_sel_hi:[1,0]
	v_lshrrev_b32_e32 v88, 16, v87
	v_sub_f16_e32 v84, v85, v84
	v_pk_fma_f16 v85, 0x35c83b29, v80, v86 op_sel_hi:[1,0,1]
	v_pk_add_f16 v3, v14, v3
	v_pk_fma_f16 v14, 0xb8d2bbdd, v70, v2 op_sel_hi:[1,0,1] neg_lo:[0,0,1] neg_hi:[0,0,1]
	v_pk_mul_f16 v90, 0xbacd2de8, v81 op_sel_hi:[1,0]
	v_pk_mul_f16 v91, 0xb836bbf7, v82 op_sel_hi:[1,0]
	v_add_f16_e32 v84, v0, v84
	v_pk_mul_f16 v93, 0x39e9b8d2, v83 op_sel_hi:[1,0]
	v_pk_add_f16 v3, v3, v14
	v_pk_fma_f16 v14, 0xb1e1b836, v77, v15 op_sel_hi:[1,0,1]
	v_lshrrev_b32_e32 v92, 16, v90
	v_pk_mul_f16 v94, 0x39643a62, v72 op_sel_hi:[1,0]
	v_mul_f16_e32 v63, 0xb461, v76
	v_mul_f16_e32 v64, 0xbbb2, v77
	v_pk_add_f16 v14, v0, v14 op_sel_hi:[0,1]
	v_pk_mul_f16 v95, 0xb8d23b76, v78 op_sel_hi:[1,0]
	v_pk_mul_f16 v96, 0xba62b5c8, v74 op_sel_hi:[1,0]
	v_mul_f16_e32 v62, 0xbacd, v79
	v_mul_f16_e32 v65, 0x3836, v80
	v_pk_add_f16 v14, v14, v85
	v_sub_f16_e32 v85, v89, v88
	v_lshrrev_b32_e32 v89, 16, v91
	v_pk_fma_f16 v88, 0xb836bbf7, v82, v90 op_sel_hi:[1,0,1]
	v_pack_b32_f16 v15, v63, v15
	v_pack_b32_f16 v16, v64, v16
	v_add_f16_e32 v84, v84, v85
	v_sub_f16_e32 v85, v92, v89
	v_lshrrev_b32_e32 v89, 16, v94
	v_lshrrev_b32_e32 v92, 16, v93
	v_pk_add_f16 v14, v14, v88
	v_pk_fma_f16 v88, 0x39643a62, v72, v93 op_sel_hi:[1,0,1]
	v_add_f16_e32 v84, v84, v85
	v_mul_f16_e32 v53, 0x39e9, v81
	v_sub_f16_e32 v85, v92, v89
	v_lshrrev_b32_e32 v89, 16, v96
	v_lshrrev_b32_e32 v92, 16, v95
	v_mul_f16_e32 v58, 0x3964, v82
	v_pk_add_f16 v14, v14, v88
	v_pk_fma_f16 v88, 0xba62b5c8, v74, v95 op_sel_hi:[1,0,1]
	v_add_f16_e32 v84, v84, v85
	v_sub_f16_e32 v89, v92, v89
	v_pk_add_f16 v15, v15, v16 neg_lo:[0,1] neg_hi:[0,1]
	v_pack_b32_f16 v16, v62, v86
	v_pack_b32_f16 v86, v65, v87
	v_mul_f16_e32 v52, 0x3722, v83
	v_mul_f16_e32 v57, 0xbb29, v72
	v_pk_add_f16 v14, v14, v88
	v_add_f16_e32 v84, v84, v89
	v_pk_mul_f16 v87, 0x3722bbdd, v75 op_sel_hi:[1,0]
	v_pk_mul_f16 v88, 0x3b29b1e1, v73 op_sel_hi:[1,0]
	v_pk_add_f16 v15, v0, v15 op_sel_hi:[0,1]
	v_pk_add_f16 v16, v16, v86 neg_lo:[0,1] neg_hi:[0,1]
	v_pack_b32_f16 v86, v53, v90
	v_pack_b32_f16 v89, v58, v91
	v_mul_f16_e32 v44, 0xbbdd, v78
	v_mul_f16_e32 v47, 0xb1e1, v74
	v_pk_fma_f16 v90, 0x3b29b1e1, v73, v87 op_sel_hi:[1,0,1]
	v_lshrrev_b32_e32 v91, 16, v88
	v_lshrrev_b32_e32 v92, 16, v87
	v_pk_add_f16 v15, v15, v16
	v_pk_add_f16 v16, v86, v89 neg_lo:[0,1] neg_hi:[0,1]
	v_pack_b32_f16 v86, v52, v93
	v_pack_b32_f16 v89, v57, v94
	v_mul_f16_e32 v45, 0x2de8, v75
	v_mul_f16_e32 v56, 0x3bf7, v73
	v_pk_add_f16 v14, v90, v14
	v_sub_f16_e32 v90, v92, v91
	v_pk_mul_f16 v91, 0xb46139e9, v70 op_sel_hi:[1,0]
	v_pk_add_f16 v15, v15, v16
	v_pk_add_f16 v16, v86, v89 neg_lo:[0,1] neg_hi:[0,1]
	v_pack_b32_f16 v86, v44, v95
	v_pack_b32_f16 v89, v47, v96
	v_mul_f16_e32 v1, 0x3b76, v70
	v_mul_f16_e32 v43, 0xb5c8, v69
	v_add_f16_e32 v71, v7, v31
	v_sub_f16_e32 v68, v23, v22
	v_add_f16_e32 v84, v90, v84
	v_pk_mul_f16 v90, 0xbbb23964, v69 op_sel_hi:[1,0]
	v_pk_fma_f16 v92, 0xbbb23964, v69, v91 op_sel_hi:[1,0,1]
	v_pk_add_f16 v15, v15, v16
	v_pk_add_f16 v16, v86, v89 neg_lo:[0,1] neg_hi:[0,1]
	v_pack_b32_f16 v86, v45, v87
	v_pack_b32_f16 v87, v56, v88
	v_mul_f16_e32 v46, 0xb8d2, v71
	v_mul_f16_e32 v51, 0xba62, v68
	v_pk_add_f16 v88, v14, v92
	v_lshrrev_b32_e32 v14, 16, v90
	v_lshrrev_b32_e32 v89, 16, v91
	v_pk_add_f16 v15, v15, v16
	v_pk_add_f16 v16, v86, v87 neg_lo:[0,1] neg_hi:[0,1]
	v_pack_b32_f16 v86, v1, v91
	v_pack_b32_f16 v87, v43, v90
	v_pk_mul_f16 v90, 0x2de8b461, v71 op_sel_hi:[1,0]
	v_pk_mul_f16 v91, 0x3bf7bbb2, v68 op_sel_hi:[1,0]
	;; [unrolled: 1-line block ×3, first 2 shown]
	v_sub_f16_e32 v14, v89, v14
	v_pk_add_f16 v15, v16, v15
	v_pk_add_f16 v16, v86, v87 neg_lo:[0,1] neg_hi:[0,1]
	v_pack_b32_f16 v86, v46, v90
	v_pack_b32_f16 v87, v51, v91
	v_lshrrev_b32_e32 v89, 16, v91
	v_lshrrev_b32_e32 v91, 16, v90
	v_pk_fma_f16 v85, 0x39e93722, v71, v59 op_sel_hi:[1,0,1] neg_lo:[0,0,1] neg_hi:[0,0,1]
	v_add_f16_e32 v84, v84, v14
	v_pk_add_f16 v14, v15, v16
	v_pk_add_f16 v16, v86, v87 neg_lo:[0,1] neg_hi:[0,1]
	v_pk_fma_f16 v86, 0x3bf7bbb2, v68, v90 op_sel_hi:[1,0,1]
	v_sub_f16_e32 v87, v91, v89
	v_pk_add_f16 v15, v85, v3
	v_cmp_gt_u32_e64 s1, 63, v12
	v_pk_add_f16 v14, v16, v14
	v_pk_add_f16 v3, v86, v88
	v_add_f16_e32 v16, v87, v84
	s_delay_alu instid0(VALU_DEP_4)
	s_and_saveexec_b32 s0, s1
	s_cbranch_execz .LBB0_15
; %bb.14:
	v_add_f16_e32 v109, v0, v40
	v_pack_b32_f16 v84, v76, v76
	v_pack_b32_f16 v86, v77, v77
	;; [unrolled: 1-line block ×4, first 2 shown]
	v_add_f16_e32 v109, v109, v39
	v_pk_mul_f16 v84, 0x39e93b76, v84
	v_pk_mul_f16 v110, 0xb964b5c8, v86
	v_pack_b32_f16 v91, v81, v81
	v_pack_b32_f16 v93, v82, v82
	v_add_f16_e32 v109, v109, v38
	v_pk_mul_f16 v88, 0x2de839e9, v88
	v_sub_f16_e32 v111, v84, v110
	v_pk_mul_f16 v112, 0xbbf7b964, v90
	v_perm_b32 v87, v0, v0, 0x5040100
	v_add_f16_e32 v109, v109, v37
	v_pack_b32_f16 v94, v83, v83
	v_pack_b32_f16 v96, v72, v72
	v_pk_mul_f16 v91, 0xb8d23722, v91
	v_add_f16_e32 v0, v0, v111
	v_sub_f16_e32 v111, v88, v112
	v_pk_mul_f16 v113, 0xba62bb29, v93
	v_add_f16_e32 v109, v109, v36
	v_pack_b32_f16 v97, v78, v78
	v_pack_b32_f16 v99, v74, v74
	v_pk_mul_f16 v94, 0xbbdd2de8, v94
	v_add_f16_e32 v0, v0, v111
	v_sub_f16_e32 v111, v91, v113
	v_pk_mul_f16 v114, 0xb1e1bbf7, v96
	;; [unrolled: 7-line block ×4, first 2 shown]
	v_add_f16_e32 v109, v109, v7
	v_pk_mul_f16 v85, 0x2de8b8d2, v76 op_sel_hi:[1,0]
	v_pack_b32_f16 v106, v71, v71
	v_pack_b32_f16 v108, v68, v68
	v_pk_mul_f16 v103, 0x3722bacd, v103
	v_add_f16_e32 v0, v0, v111
	v_sub_f16_e32 v111, v100, v116
	v_pk_mul_f16 v117, 0x3b29b836, v105
	v_add_f16_e32 v109, v109, v31
	v_pk_mul_f16 v89, 0xbbddb461, v79 op_sel_hi:[1,0]
	v_mul_f16_e32 v76, 0x3722, v76
	v_mul_f16_e32 v77, 0xbb29, v77
	v_pk_mul_f16 v106, 0x3b76bbdd, v106
	v_add_f16_e32 v0, v111, v0
	v_sub_f16_e32 v111, v103, v117
	v_pk_mul_f16 v118, 0x35c8b1e1, v108
	v_add_f16_e32 v109, v109, v34
	v_pk_fma_f16 v86, 0xb964b5c8, v86, v84
	v_perm_b32 v64, v67, v64, 0x5040100
	v_perm_b32 v63, v85, v63, 0x5040100
	v_mul_f16_e32 v79, 0xb8d2, v79
	v_mul_f16_e32 v80, 0xba62, v80
	v_add_f16_e32 v0, v0, v111
	v_sub_f16_e32 v111, v106, v118
	v_add_f16_e32 v109, v35, v109
	v_pk_add_f16 v86, v87, v86
	v_pk_fma_f16 v90, 0xbbf7b964, v90, v88
	v_bfi_b32 v119, 0xffff, v77, v67
	v_bfi_b32 v120, 0xffff, v76, v85
	v_pk_add_f16 v63, v64, v63
	v_perm_b32 v64, v66, v65, 0x5040100
	v_perm_b32 v62, v89, v62, 0x5040100
	v_pk_mul_f16 v92, 0xb4613b76, v81 op_sel_hi:[1,0]
	v_mul_f16_e32 v82, 0x31e1, v82
	v_add_f16_e32 v111, v111, v0
	v_add_f16_e32 v0, v41, v109
	v_pk_add_f16 v86, v86, v90
	v_pk_fma_f16 v90, 0xba62bb29, v93, v91
	v_pk_add_f16 v93, v119, v120
	v_bfi_b32 v109, 0xffff, v80, v66
	v_bfi_b32 v119, 0xffff, v79, v89
	v_pk_add_f16 v63, v87, v63
	v_pk_add_f16 v62, v64, v62
	v_bfi_b32 v64, 0xffff, v76, v84
	v_bfi_b32 v76, 0xffff, v77, v110
	v_mul_f16_e32 v81, 0xbbdd, v81
	v_pk_mul_f16 v95, 0x3b76bacd, v83 op_sel_hi:[1,0]
	v_mul_f16_e32 v72, 0x3bb2, v72
	v_pk_add_f16 v86, v86, v90
	v_pk_fma_f16 v90, 0xb1e1bbf7, v96, v94
	v_pk_add_f16 v96, v109, v119
	v_bfi_b32 v109, 0xffff, v82, v61
	v_perm_b32 v58, v61, v58, 0x5040100
	v_perm_b32 v53, v92, v53, 0x5040100
	v_pk_add_f16 v61, v63, v62
	v_pk_add_f16 v62, v64, v76 neg_lo:[0,1] neg_hi:[0,1]
	v_bfi_b32 v63, 0xffff, v79, v88
	v_bfi_b32 v64, 0xffff, v80, v112
	v_mul_f16_e32 v83, 0xb461, v83
	v_add_f16_e32 v0, v42, v0
	v_pk_add_f16 v93, v87, v93
	v_bfi_b32 v119, 0xffff, v81, v92
	v_pk_add_f16 v86, v86, v90
	v_pk_fma_f16 v90, 0x3836bbb2, v99, v97
	v_bfi_b32 v99, 0xffff, v72, v60
	v_pk_add_f16 v53, v58, v53
	v_perm_b32 v57, v60, v57, 0x5040100
	v_perm_b32 v52, v95, v52, 0x5040100
	v_pk_add_f16 v58, v87, v62
	v_pk_add_f16 v60, v63, v64 neg_lo:[0,1] neg_hi:[0,1]
	v_bfi_b32 v62, 0xffff, v81, v91
	v_bfi_b32 v63, 0xffff, v82, v113
	v_pk_mul_f16 v98, 0x37222de8, v78 op_sel_hi:[1,0]
	v_mul_f16_e32 v78, 0x39e9, v78
	v_mul_f16_e32 v74, 0x3964, v74
	v_add_f16_e32 v0, v48, v0
	v_pk_add_f16 v93, v93, v96
	v_pk_add_f16 v96, v109, v119
	v_bfi_b32 v109, 0xffff, v83, v95
	v_pk_add_f16 v53, v61, v53
	v_pk_add_f16 v52, v57, v52
	;; [unrolled: 1-line block ×3, first 2 shown]
	v_pk_add_f16 v58, v62, v63 neg_lo:[0,1] neg_hi:[0,1]
	v_bfi_b32 v60, 0xffff, v83, v94
	v_bfi_b32 v61, 0xffff, v72, v114
	v_pk_mul_f16 v101, 0xbacd39e9, v75 op_sel_hi:[1,0]
	v_mul_f16_e32 v75, 0x3b76, v75
	v_mul_f16_e32 v73, 0xb5c8, v73
	v_add_f16_e32 v0, v49, v0
	v_pk_add_f16 v86, v86, v90
	v_pk_fma_f16 v90, 0x3bb2ba62, v102, v100
	v_pk_add_f16 v93, v93, v96
	v_pk_add_f16 v96, v99, v109
	v_bfi_b32 v99, 0xffff, v74, v55
	v_bfi_b32 v102, 0xffff, v78, v98
	v_pk_add_f16 v52, v53, v52
	v_perm_b32 v47, v55, v47, 0x5040100
	v_perm_b32 v44, v98, v44, 0x5040100
	v_pk_add_f16 v53, v57, v58
	v_pk_add_f16 v55, v60, v61 neg_lo:[0,1] neg_hi:[0,1]
	v_bfi_b32 v57, 0xffff, v78, v97
	v_bfi_b32 v58, 0xffff, v74, v115
	v_add_f16_e32 v109, v50, v0
	v_pk_add_f16 v0, v90, v86
	v_pk_add_f16 v90, v93, v96
	;; [unrolled: 1-line block ×3, first 2 shown]
	v_bfi_b32 v96, 0xffff, v73, v54
	v_bfi_b32 v99, 0xffff, v75, v101
	v_pk_mul_f16 v104, 0xb8d2bbdd, v70 op_sel_hi:[1,0]
	v_mul_f16_e32 v70, 0x2de8, v70
	v_mul_f16_e32 v69, 0xbbf7, v69
	v_pk_add_f16 v44, v47, v44
	v_perm_b32 v47, v54, v56, 0x5040100
	v_perm_b32 v45, v101, v45, 0x5040100
	v_pk_add_f16 v53, v53, v55
	v_pk_add_f16 v54, v57, v58 neg_lo:[0,1] neg_hi:[0,1]
	v_bfi_b32 v55, 0xffff, v75, v100
	v_bfi_b32 v56, 0xffff, v73, v116
	v_pk_add_f16 v67, v90, v93
	v_pk_add_f16 v85, v96, v99
	v_pk_mul_f16 v107, 0x39e93722, v71 op_sel_hi:[1,0]
	v_mul_f16_e32 v71, 0xbacd, v71
	v_mul_f16_e32 v68, 0xb836, v68
	v_pk_add_f16 v44, v52, v44
	v_pk_add_f16 v45, v47, v45
	;; [unrolled: 1-line block ×3, first 2 shown]
	v_pk_add_f16 v52, v55, v56 neg_lo:[0,1] neg_hi:[0,1]
	v_bfi_b32 v53, 0xffff, v70, v103
	v_bfi_b32 v54, 0xffff, v69, v117
	v_pk_add_f16 v65, v85, v67
	v_bfi_b32 v66, 0xffff, v69, v2
	v_bfi_b32 v67, 0xffff, v70, v104
	v_perm_b32 v2, v2, v43, 0x5040100
	v_perm_b32 v1, v104, v1, 0x5040100
	v_pk_add_f16 v44, v45, v44
	v_pk_add_f16 v43, v52, v47
	v_pk_add_f16 v45, v53, v54 neg_lo:[0,1] neg_hi:[0,1]
	v_bfi_b32 v47, 0xffff, v71, v106
	v_bfi_b32 v52, 0xffff, v68, v118
	v_pk_fma_f16 v86, 0x3b29b836, v105, v103
	v_pk_add_f16 v66, v66, v67
	v_bfi_b32 v64, 0xffff, v68, v59
	v_bfi_b32 v57, 0xffff, v71, v107
	v_pk_add_f16 v1, v2, v1
	v_perm_b32 v2, v59, v51, 0x5040100
	v_perm_b32 v46, v107, v46, 0x5040100
	v_pk_add_f16 v43, v43, v45
	v_pk_add_f16 v45, v47, v52 neg_lo:[0,1] neg_hi:[0,1]
	v_pk_add_f16 v0, v0, v86
	v_pk_fma_f16 v86, 0x35c8b1e1, v108, v106
	v_pk_add_f16 v47, v65, v66
	v_pk_add_f16 v51, v64, v57
	v_pk_add_f16 v44, v44, v1
	v_pk_add_f16 v2, v2, v46
	v_pk_add_f16 v43, v45, v43
	v_mad_u32_u24 v52, v12, 34, 0
	v_pk_add_f16 v0, v86, v0
	v_pk_add_f16 v1, v51, v47
	;; [unrolled: 1-line block ×3, first 2 shown]
	v_alignbit_b32 v46, v111, v43, 16
	v_alignbit_b32 v45, v43, v15, 16
	v_bfi_b32 v43, 0xffff, v16, v14
	v_perm_b32 v44, v14, v15, 0x5040100
	ds_store_b16 v52, v109
	ds_store_b128 v52, v[0:3] offset:2
	ds_store_b128 v52, v[43:46] offset:18
.LBB0_15:
	s_wait_alu 0xfffe
	s_or_b32 exec_lo, exec_lo, s0
	v_lshl_add_u32 v0, v12, 1, 0
	global_wb scope:SCOPE_SE
	s_wait_dscnt 0x0
	s_barrier_signal -1
	s_barrier_wait -1
	global_inv scope:SCOPE_SE
	ds_load_u16 v1, v0
	ds_load_u16 v47, v0 offset:306
	ds_load_u16 v46, v0 offset:612
	;; [unrolled: 1-line block ×6, first 2 shown]
	v_cmp_gt_u32_e64 s0, 34, v12
	s_delay_alu instid0(VALU_DEP_1)
	s_and_saveexec_b32 s4, s0
	s_cbranch_execz .LBB0_17
; %bb.16:
	ds_load_u16 v3, v0 offset:238
	ds_load_u16 v14, v0 offset:1768
	;; [unrolled: 1-line block ×4, first 2 shown]
	s_wait_dscnt 0x3
	ds_load_u16_d16_hi v3, v0 offset:544
	s_wait_dscnt 0x3
	ds_load_u16_d16_hi v14, v0 offset:1156
	;; [unrolled: 2-line block ×3, first 2 shown]
.LBB0_17:
	s_wait_alu 0xfffe
	s_or_b32 exec_lo, exec_lo, s4
	v_sub_f16_e32 v50, v40, v50
	v_add_f16_e32 v51, v30, v5
	v_sub_f16_e32 v52, v39, v49
	v_add_f16_e32 v53, v29, v6
	v_sub_f16_e32 v55, v38, v48
	v_mul_f16_e32 v63, 0xb836, v50
	v_sub_f16_e32 v56, v37, v42
	v_mul_f16_e32 v64, 0x3b29, v52
	v_add_f16_e32 v54, v28, v17
	v_sub_f16_e32 v59, v36, v41
	v_fmamk_f16 v37, v51, 0xbacd, v63
	v_mul_f16_e32 v66, 0xbbf7, v55
	v_fmamk_f16 v36, v53, 0x3722, v64
	v_pk_mul_f16 v40, 0xbbf7bbb2, v50 op_sel_hi:[1,0]
	v_add_f16_e32 v57, v27, v18
	v_add_f16_e32 v37, v4, v37
	v_fmamk_f16 v38, v54, 0x2de8, v66
	v_mul_f16_e32 v69, 0x3a62, v56
	v_pk_mul_f16 v39, 0xb1e13836, v52 op_sel_hi:[1,0]
	v_add_f16_e32 v61, v26, v19
	v_add_f16_e32 v36, v37, v36
	v_pk_fma_f16 v37, 0x2de8b461, v51, v40 op_sel_hi:[1,0,1]
	v_mul_f16_e32 v71, 0xb5c8, v59
	v_pk_fma_f16 v42, 0xbbddbacd, v53, v39 op_sel_hi:[1,0,1]
	v_pk_mul_f16 v41, 0x3bb23964, v55 op_sel_hi:[1,0]
	v_add_f16_e32 v36, v36, v38
	v_fmamk_f16 v38, v57, 0xb8d2, v69
	v_pk_add_f16 v37, v4, v37 op_sel_hi:[0,1]
	v_sub_f16_e32 v58, v33, v35
	v_pk_fma_f16 v48, 0xb46139e9, v54, v41 op_sel_hi:[1,0,1]
	v_add_f16_e32 v62, v25, v20
	v_add_f16_e32 v36, v36, v38
	v_fmamk_f16 v38, v61, 0x3b76, v71
	v_pk_add_f16 v42, v37, v42
	v_pk_mul_f16 v37, 0x35c8bb29, v56 op_sel_hi:[1,0]
	v_mul_f16_e32 v74, 0xb1e1, v58
	v_sub_f16_e32 v49, v32, v34
	v_add_f16_e32 v38, v36, v38
	v_pk_add_f16 v33, v42, v48
	v_pk_fma_f16 v35, 0x3b763722, v57, v37 op_sel_hi:[1,0,1]
	v_pk_mul_f16 v36, 0xbb29b1e1, v59 op_sel_hi:[1,0]
	v_fmamk_f16 v42, v62, 0xbbdd, v74
	v_add_f16_e32 v60, v24, v21
	v_pk_mul_f16 v34, 0x3a62b5c8, v49 op_sel_hi:[1,0]
	v_pk_add_f16 v32, v33, v35
	v_pk_fma_f16 v33, 0x3722bbdd, v61, v36 op_sel_hi:[1,0,1]
	v_pk_mul_f16 v35, 0xb8363bf7, v58 op_sel_hi:[1,0]
	v_add_f16_e32 v38, v42, v38
	v_sub_f16_e32 v42, v7, v31
	v_pk_mul_f16 v7, 0xba62b1e1, v50 op_sel_hi:[1,0]
	v_pk_add_f16 v32, v32, v33
	v_pk_fma_f16 v33, 0xbacd2de8, v62, v35 op_sel_hi:[1,0,1]
	v_mul_f16_e32 v65, 0xbacd, v51
	v_pk_mul_f16 v79, 0xb8d2bbdd, v51 op_sel_hi:[1,0]
	v_mul_f16_e32 v67, 0x3722, v53
	v_pk_mul_f16 v82, 0xb5c8b836, v55 op_sel_hi:[1,0]
	v_pk_add_f16 v32, v33, v32
	v_pk_fma_f16 v33, 0xb8d23b76, v60, v34 op_sel_hi:[1,0,1]
	v_pack_b32_f16 v65, v65, v79
	v_mul_f16_e32 v68, 0x2de8, v54
	v_pk_fma_f16 v79, 0x3b76bacd, v54, v82 op_sel_hi:[1,0,1]
	v_mul_f16_e32 v70, 0xb8d2, v57
	v_pk_add_f16 v31, v32, v33
	v_pk_fma_f16 v32, 0xb8d2bbdd, v51, v7 op_sel_hi:[1,0,1]
	v_pk_mul_f16 v33, 0x3bb235c8, v52 op_sel_hi:[1,0]
	v_pack_b32_f16 v7, v63, v7
	v_pk_mul_f16 v63, 0xb4613b76, v53 op_sel_hi:[1,0]
	v_mul_f16_e32 v72, 0x3b76, v61
	v_pk_add_f16 v32, v4, v32 op_sel_hi:[0,1]
	v_pk_fma_f16 v81, 0xb4613b76, v53, v33 op_sel_hi:[1,0,1]
	v_pk_add_f16 v7, v65, v7 neg_lo:[0,1] neg_hi:[0,1]
	v_pack_b32_f16 v63, v67, v63
	v_pack_b32_f16 v33, v64, v33
	v_pk_mul_f16 v64, 0x3b76bacd, v54 op_sel_hi:[1,0]
	v_pk_add_f16 v32, v32, v81
	v_pk_mul_f16 v81, 0xb8363964, v56 op_sel_hi:[1,0]
	v_pk_add_f16 v7, v4, v7 op_sel_hi:[0,1]
	v_pk_add_f16 v33, v63, v33 neg_lo:[0,1] neg_hi:[0,1]
	v_pack_b32_f16 v63, v68, v64
	v_pk_add_f16 v32, v32, v79
	v_pk_fma_f16 v65, 0xbacd39e9, v57, v81 op_sel_hi:[1,0,1]
	v_pack_b32_f16 v64, v66, v82
	v_pk_mul_f16 v66, 0xbacd39e9, v57 op_sel_hi:[1,0]
	v_mul_f16_e32 v75, 0x3964, v49
	v_pk_add_f16 v7, v7, v33
	v_pk_add_f16 v32, v32, v65
	v_pk_mul_f16 v65, 0x3bf7ba62, v59 op_sel_hi:[1,0]
	v_pk_add_f16 v33, v63, v64 neg_lo:[0,1] neg_hi:[0,1]
	v_pack_b32_f16 v63, v70, v66
	v_pack_b32_f16 v64, v69, v81
	v_pk_mul_f16 v66, 0x2de8b8d2, v61 op_sel_hi:[1,0]
	v_mul_f16_e32 v73, 0xbbdd, v62
	v_fmamk_f16 v48, v60, 0x39e9, v75
	v_pk_fma_f16 v67, 0x2de8b8d2, v61, v65 op_sel_hi:[1,0,1]
	v_pk_mul_f16 v68, 0xb9643b29, v58 op_sel_hi:[1,0]
	v_pk_add_f16 v7, v7, v33
	v_pk_add_f16 v33, v63, v64 neg_lo:[0,1] neg_hi:[0,1]
	v_pack_b32_f16 v63, v72, v66
	v_pack_b32_f16 v64, v71, v65
	v_pk_mul_f16 v65, 0x39e93722, v62 op_sel_hi:[1,0]
	v_mul_f16_e32 v76, 0x39e9, v60
	v_add_f16_e32 v77, v38, v48
	v_add_f16_e32 v48, v23, v22
	v_pk_add_f16 v32, v32, v67
	v_pk_fma_f16 v66, 0x39e93722, v62, v68 op_sel_hi:[1,0,1]
	v_pk_add_f16 v7, v7, v33
	v_pk_add_f16 v33, v63, v64 neg_lo:[0,1] neg_hi:[0,1]
	v_pack_b32_f16 v63, v73, v65
	v_pack_b32_f16 v64, v74, v68
	v_pk_mul_f16 v65, 0xbbddb461, v60 op_sel_hi:[1,0]
	v_pk_mul_f16 v67, 0xb1e1bbb2, v49 op_sel_hi:[1,0]
	v_mul_f16_e32 v78, 0xb461, v48
	v_mul_f16_e32 v80, 0xbbb2, v42
	v_pk_add_f16 v32, v66, v32
	v_pk_add_f16 v7, v7, v33
	v_pk_add_f16 v33, v63, v64 neg_lo:[0,1] neg_hi:[0,1]
	v_pack_b32_f16 v63, v76, v65
	v_pack_b32_f16 v64, v75, v67
	v_pk_mul_f16 v65, 0x37222de8, v48 op_sel_hi:[1,0]
	v_pk_mul_f16 v66, 0x3b293bf7, v42 op_sel_hi:[1,0]
	;; [unrolled: 1-line block ×3, first 2 shown]
	v_pk_fma_f16 v67, 0xbbddb461, v60, v67 op_sel_hi:[1,0,1]
	v_pk_add_f16 v7, v33, v7
	v_pk_add_f16 v33, v63, v64 neg_lo:[0,1] neg_hi:[0,1]
	v_pack_b32_f16 v63, v78, v65
	v_pack_b32_f16 v64, v80, v66
	v_pk_fma_f16 v65, 0x39e9b8d2, v48, v38 op_sel_hi:[1,0,1]
	v_fmamk_f16 v68, v48, 0xb461, v80
	v_pk_add_f16 v32, v32, v67
	v_pk_add_f16 v7, v7, v33
	v_pk_add_f16 v63, v63, v64 neg_lo:[0,1] neg_hi:[0,1]
	v_pk_fma_f16 v64, 0x37222de8, v48, v66 op_sel_hi:[1,0,1]
	v_pk_add_f16 v31, v65, v31
	v_add_f16_e32 v33, v68, v77
	global_wb scope:SCOPE_SE
	s_wait_dscnt 0x0
	v_pk_add_f16 v7, v63, v7
	v_pk_add_f16 v32, v64, v32
	s_barrier_signal -1
	s_barrier_wait -1
	global_inv scope:SCOPE_SE
	s_and_saveexec_b32 s4, s1
	s_cbranch_execz .LBB0_19
; %bb.18:
	v_add_f16_e32 v30, v4, v30
	v_pack_b32_f16 v63, v51, v51
	v_pack_b32_f16 v64, v50, v50
	;; [unrolled: 1-line block ×4, first 2 shown]
	v_add_f16_e32 v29, v30, v29
	v_pack_b32_f16 v30, v52, v52
	v_pk_mul_f16 v79, 0x3722bbdd, v61 op_sel_hi:[1,0]
	v_perm_b32 v65, v4, v4, 0x5040100
	v_pack_b32_f16 v67, v54, v54
	v_add_f16_e32 v28, v29, v28
	v_pack_b32_f16 v29, v56, v56
	v_pack_b32_f16 v68, v55, v55
	;; [unrolled: 1-line block ×4, first 2 shown]
	v_add_f16_e32 v27, v28, v27
	v_pack_b32_f16 v72, v62, v62
	v_pk_mul_f16 v78, 0xb46139e9, v54 op_sel_hi:[1,0]
	v_pk_mul_f16 v80, 0xbacd2de8, v62 op_sel_hi:[1,0]
	v_pk_mul_f16 v82, 0xbbf7b964, v30
	v_add_f16_e32 v26, v27, v26
	v_pk_mul_f16 v83, 0xba62bb29, v68
	v_pk_mul_f16 v84, 0xbbdd2de8, v69
	;; [unrolled: 1-line block ×3, first 2 shown]
	v_pk_fma_f16 v89, 0x2de839e9, v66, v82 neg_lo:[0,0,1] neg_hi:[0,0,1]
	v_add_f16_e32 v25, v26, v25
	v_pk_mul_f16 v26, 0x3b763722, v57 op_sel_hi:[1,0]
	v_pk_mul_f16 v76, 0x2de8b461, v51 op_sel_hi:[1,0]
	v_mul_f16_e32 v51, 0x3722, v51
	v_mul_f16_e32 v50, 0xbb29, v50
	v_add_f16_e32 v24, v25, v24
	v_pk_mul_f16 v86, 0x3836bbb2, v71
	v_pk_mul_f16 v77, 0xbbddbacd, v53 op_sel_hi:[1,0]
	v_mul_f16_e32 v53, 0xb8d2, v53
	v_pack_b32_f16 v28, v58, v58
	v_add_f16_e32 v23, v24, v23
	v_mul_f16_e32 v24, 0xba62, v52
	v_mul_f16_e32 v52, 0xbbdd, v54
	;; [unrolled: 1-line block ×4, first 2 shown]
	v_add_f16_e32 v22, v23, v22
	v_mul_f16_e32 v23, 0x3bb2, v56
	v_mul_f16_e32 v56, 0x39e9, v61
	v_pk_mul_f16 v61, 0xb964b5c8, v64
	v_mul_f16_e32 v57, 0x3964, v59
	v_add_f16_e32 v21, v22, v21
	v_pk_mul_f16 v22, 0x39e93b76, v63
	v_mul_f16_e32 v59, 0x3b76, v62
	v_pk_mul_f16 v62, 0x2de839e9, v66
	v_pk_fma_f16 v88, 0x39e93b76, v63, v61 neg_lo:[0,0,1] neg_hi:[0,0,1]
	v_add_f16_e32 v20, v20, v21
	v_add_f16_e32 v87, v22, v61
	v_pk_mul_f16 v21, 0xb8d23722, v67
	v_bfi_b32 v22, 0xffff, v51, v22
	v_bfi_b32 v61, 0xffff, v50, v61
	v_add_f16_e32 v19, v19, v20
	v_add_f16_e32 v4, v4, v87
	v_pk_add_f16 v87, v65, v88
	v_pk_fma_f16 v88, 0xb8d23722, v67, v83 neg_lo:[0,0,1] neg_hi:[0,0,1]
	v_pk_mul_f16 v20, 0xbacdb461, v70
	v_add_f16_e32 v18, v18, v19
	v_add_f16_e32 v19, v62, v82
	v_pack_b32_f16 v73, v60, v60
	v_pack_b32_f16 v74, v49, v49
	v_pk_mul_f16 v81, 0xb8d23b76, v60 op_sel_hi:[1,0]
	v_add_f16_e32 v17, v17, v18
	v_add_f16_e32 v18, v21, v83
	;; [unrolled: 1-line block ×3, first 2 shown]
	v_pk_add_f16 v19, v87, v89
	v_pk_fma_f16 v87, 0xbbdd2de8, v69, v85 neg_lo:[0,0,1] neg_hi:[0,0,1]
	v_add_f16_e32 v6, v6, v17
	v_add_f16_e32 v17, v84, v85
	;; [unrolled: 1-line block ×3, first 2 shown]
	v_pk_add_f16 v18, v19, v88
	v_pk_fma_f16 v19, 0xbacdb461, v70, v86 neg_lo:[0,0,1] neg_hi:[0,0,1]
	v_bfi_b32 v21, 0xffff, v52, v21
	v_add_f16_e32 v88, v5, v6
	v_add_f16_e32 v4, v4, v17
	v_pk_add_f16 v17, v18, v87
	v_mul_f16_e32 v5, 0xb5c8, v58
	v_mul_f16_e32 v6, 0x2de8, v60
	v_add_f16_e32 v18, v20, v86
	v_pk_mul_f16 v58, 0xb461b8d2, v72
	v_pk_add_f16 v17, v17, v19
	v_pk_add_f16 v19, v22, v61
	v_bfi_b32 v22, 0xffff, v53, v62
	v_bfi_b32 v61, 0xffff, v24, v82
	v_pk_mul_f16 v60, 0x3bb2ba62, v28
	v_bfi_b32 v20, 0xffff, v56, v20
	v_pk_add_f16 v19, v65, v19
	v_mul_f16_e32 v49, 0xbbf7, v49
	v_pk_add_f16 v22, v22, v61
	v_bfi_b32 v61, 0xffff, v54, v83
	v_pk_mul_f16 v82, 0x3722bacd, v73
	v_pk_mul_f16 v87, 0x3b29b836, v74
	v_bfi_b32 v51, 0xffff, v51, v76
	v_pk_add_f16 v19, v19, v22
	v_pk_add_f16 v21, v21, v61
	v_bfi_b32 v22, 0xffff, v55, v84
	v_bfi_b32 v61, 0xffff, v23, v85
	;; [unrolled: 1-line block ×4, first 2 shown]
	v_pk_add_f16 v19, v19, v21
	v_bfi_b32 v24, 0xffff, v24, v39
	v_pk_add_f16 v21, v22, v61
	v_bfi_b32 v22, 0xffff, v57, v86
	v_pk_add_f16 v40, v51, v40 neg_lo:[0,1] neg_hi:[0,1]
	v_bfi_b32 v23, 0xffff, v23, v37
	v_add_f16_e32 v4, v4, v18
	v_pk_add_f16 v19, v19, v21
	v_pk_add_f16 v20, v20, v22
	v_bfi_b32 v21, 0xffff, v59, v58
	v_bfi_b32 v22, 0xffff, v5, v60
	v_add_f16_e32 v18, v58, v60
	v_pk_fma_f16 v62, 0xb461b8d2, v72, v60 neg_lo:[0,0,1] neg_hi:[0,0,1]
	v_pk_add_f16 v19, v19, v20
	v_bfi_b32 v5, 0xffff, v5, v35
	v_pk_add_f16 v20, v21, v22
	v_bfi_b32 v21, 0xffff, v6, v82
	v_bfi_b32 v22, 0xffff, v49, v87
	v_add_f16_e32 v4, v18, v4
	v_add_f16_e32 v18, v82, v87
	v_pk_add_f16 v19, v20, v19
	v_pack_b32_f16 v75, v48, v48
	v_pk_add_f16 v20, v21, v22
	v_pk_add_f16 v21, v65, v40
	v_pk_add_f16 v22, v50, v24 neg_lo:[0,1] neg_hi:[0,1]
	v_bfi_b32 v24, 0xffff, v52, v78
	v_bfi_b32 v40, 0xffff, v54, v41
	v_pk_add_f16 v19, v19, v20
	v_pk_mul_f16 v20, 0x3a623bb2, v64
	v_pk_add_f16 v21, v21, v22
	v_pack_b32_f16 v27, v42, v42
	v_pk_add_f16 v22, v24, v40 neg_lo:[0,1] neg_hi:[0,1]
	v_bfi_b32 v24, 0xffff, v55, v26
	v_pk_fma_f16 v20, 0xb8d2b461, v63, v20
	v_pk_mul_f16 v26, 0xbbb2b836, v30
	v_bfi_b32 v30, 0xffff, v57, v36
	v_pk_add_f16 v21, v21, v22
	v_pk_add_f16 v22, v24, v23 neg_lo:[0,1] neg_hi:[0,1]
	v_pk_add_f16 v20, v65, v20
	v_pk_fma_f16 v23, 0xb461bacd, v66, v26
	v_pk_mul_f16 v24, 0x35c8b964, v68
	v_bfi_b32 v26, 0xffff, v56, v79
	v_pk_add_f16 v21, v21, v22
	v_pk_add_f16 v17, v62, v17
	;; [unrolled: 1-line block ×3, first 2 shown]
	v_pk_fma_f16 v22, 0x3b7639e9, v67, v24
	v_pk_mul_f16 v23, 0x38363b29, v29
	v_pk_add_f16 v24, v26, v30 neg_lo:[0,1] neg_hi:[0,1]
	v_bfi_b32 v26, 0xffff, v59, v80
	v_add_f16_e32 v4, v4, v18
	v_pk_add_f16 v20, v20, v22
	v_pk_fma_f16 v22, 0xbacd3722, v69, v23
	v_pk_mul_f16 v23, 0xbbf731e1, v71
	v_pk_fma_f16 v18, 0x3722bacd, v73, v87 neg_lo:[0,0,1] neg_hi:[0,0,1]
	v_pk_add_f16 v21, v21, v24
	v_pk_add_f16 v5, v26, v5 neg_lo:[0,1] neg_hi:[0,1]
	v_pk_add_f16 v20, v20, v22
	v_pk_fma_f16 v22, 0x2de8bbdd, v70, v23
	v_pk_mul_f16 v23, 0x3964bbf7, v28
	v_pk_mul_f16 v62, 0x35c8b1e1, v27
	v_pk_add_f16 v17, v17, v18
	v_pk_mul_f16 v18, 0x3b76bbdd, v75
	v_mul_f16_e32 v39, 0xbacd, v48
	v_mul_f16_e32 v41, 0xb836, v42
	v_pk_mul_f16 v25, 0x39e9b8d2, v48 op_sel_hi:[1,0]
	v_bfi_b32 v6, 0xffff, v6, v81
	v_bfi_b32 v24, 0xffff, v49, v34
	v_pk_add_f16 v5, v5, v21
	v_pk_add_f16 v20, v20, v22
	v_pk_fma_f16 v21, 0x39e92de8, v72, v23
	v_pk_mul_f16 v22, 0x31e135c8, v74
	v_add_f16_e32 v58, v18, v62
	v_bfi_b32 v18, 0xffff, v39, v18
	v_bfi_b32 v29, 0xffff, v41, v62
	v_pk_add_f16 v6, v6, v24 neg_lo:[0,1] neg_hi:[0,1]
	v_bfi_b32 v23, 0xffff, v39, v25
	v_bfi_b32 v24, 0xffff, v41, v38
	v_pk_add_f16 v20, v21, v20
	v_pk_fma_f16 v21, 0xbbdd3b76, v73, v22
	v_pk_mul_f16 v22, 0xbb293a62, v27
	v_pk_add_f16 v18, v18, v29
	v_pk_add_f16 v5, v5, v6
	v_pk_add_f16 v6, v23, v24 neg_lo:[0,1] neg_hi:[0,1]
	v_pk_add_f16 v20, v20, v21
	v_pk_fma_f16 v21, 0x3722b8d2, v75, v22
	v_pk_fma_f16 v61, 0x3b76bbdd, v75, v62 neg_lo:[0,0,1] neg_hi:[0,0,1]
	v_add_f16_e32 v22, v58, v4
	v_pk_add_f16 v18, v18, v19
	v_pk_add_f16 v5, v6, v5
	;; [unrolled: 1-line block ×3, first 2 shown]
	v_lshl_add_u32 v21, v12, 5, v0
	v_pk_add_f16 v4, v61, v17
	v_alignbit_b32 v20, v22, v18, 16
	v_alignbit_b32 v19, v18, v31, 16
	v_perm_b32 v17, v33, v32, 0x5040100
	v_alignbit_b32 v18, v31, v32, 16
	ds_store_b16 v21, v88
	ds_store_b128 v21, v[4:7] offset:2
	ds_store_b128 v21, v[17:20] offset:18
.LBB0_19:
	s_wait_alu 0xfffe
	s_or_b32 exec_lo, exec_lo, s4
	global_wb scope:SCOPE_SE
	s_wait_dscnt 0x0
	s_barrier_signal -1
	s_barrier_wait -1
	global_inv scope:SCOPE_SE
	ds_load_u16 v4, v0
	ds_load_u16 v24, v0 offset:306
	ds_load_u16 v23, v0 offset:612
	;; [unrolled: 1-line block ×6, first 2 shown]
	v_lshrrev_b32_e32 v5, 16, v7
	s_and_saveexec_b32 s1, s0
	s_cbranch_execz .LBB0_21
; %bb.20:
	ds_load_u16 v32, v0 offset:850
	ds_load_u16 v31, v0 offset:1768
	;; [unrolled: 1-line block ×5, first 2 shown]
	s_wait_dscnt 0x4
	ds_load_u16_d16_hi v32, v0 offset:1462
	s_wait_dscnt 0x4
	ds_load_u16_d16_hi v31, v0 offset:2074
.LBB0_21:
	s_wait_alu 0xfffe
	s_or_b32 exec_lo, exec_lo, s1
	v_and_b32_e32 v18, 0xff, v12
	v_add_nc_u16 v19, v12, 0x77
	v_lshrrev_b32_e32 v54, 16, v3
	v_lshrrev_b32_e32 v55, 16, v14
	s_wait_dscnt 0x1
	v_lshrrev_b32_e32 v56, 16, v32
	v_mul_lo_u16 v18, 0xf1, v18
	v_and_b32_e32 v25, 0xff, v19
	s_wait_dscnt 0x0
	v_lshrrev_b32_e32 v58, 16, v31
	v_lshrrev_b32_e32 v57, 16, v15
	v_lshrrev_b16 v18, 12, v18
	v_mul_lo_u16 v25, 0xf1, v25
	s_delay_alu instid0(VALU_DEP_2) | instskip(NEXT) | instid1(VALU_DEP_2)
	v_mul_lo_u16 v20, v18, 17
	v_lshrrev_b16 v34, 12, v25
	v_and_b32_e32 v18, 0xffff, v18
	s_delay_alu instid0(VALU_DEP_3) | instskip(NEXT) | instid1(VALU_DEP_3)
	v_sub_nc_u16 v20, v12, v20
	v_mul_lo_u16 v26, v34, 17
	s_delay_alu instid0(VALU_DEP_3) | instskip(NEXT) | instid1(VALU_DEP_3)
	v_mul_u32_u24_e32 v18, 0xee, v18
	v_and_b32_e32 v20, 0xff, v20
	s_delay_alu instid0(VALU_DEP_3) | instskip(NEXT) | instid1(VALU_DEP_2)
	v_sub_nc_u16 v19, v19, v26
	v_mul_u32_u24_e32 v25, 6, v20
	s_delay_alu instid0(VALU_DEP_2) | instskip(SKIP_1) | instid1(VALU_DEP_3)
	v_and_b32_e32 v35, 0xff, v19
	v_lshlrev_b32_e32 v20, 1, v20
	v_lshlrev_b32_e32 v29, 2, v25
	s_delay_alu instid0(VALU_DEP_3) | instskip(NEXT) | instid1(VALU_DEP_3)
	v_mul_u32_u24_e32 v19, 6, v35
	v_add3_u32 v20, 0, v18, v20
	v_lshlrev_b32_e32 v18, 1, v35
	s_clause 0x1
	global_load_b128 v[25:28], v29, s[8:9]
	global_load_b64 v[29:30], v29, s[8:9] offset:16
	v_lshlrev_b32_e32 v19, 2, v19
	s_clause 0x1
	global_load_b128 v[48:51], v19, s[8:9]
	global_load_b64 v[52:53], v19, s[8:9] offset:16
	v_and_b32_e32 v19, 0xffff, v34
	global_wb scope:SCOPE_SE
	s_wait_loadcnt 0x0
	s_barrier_signal -1
	s_barrier_wait -1
	global_inv scope:SCOPE_SE
	v_lshrrev_b32_e32 v34, 16, v25
	v_lshrrev_b32_e32 v36, 16, v26
	;; [unrolled: 1-line block ×6, first 2 shown]
	v_mul_f16_e32 v35, v24, v34
	v_mul_f16_e32 v41, v47, v34
	;; [unrolled: 1-line block ×12, first 2 shown]
	v_lshrrev_b32_e32 v63, 16, v48
	v_lshrrev_b32_e32 v64, 16, v49
	;; [unrolled: 1-line block ×4, first 2 shown]
	v_fmac_f16_e32 v35, v47, v25
	v_fmac_f16_e32 v34, v46, v26
	;; [unrolled: 1-line block ×4, first 2 shown]
	v_fma_f16 v2, v6, v30, -v62
	v_mul_f16_e32 v6, v54, v63
	v_lshrrev_b32_e32 v66, 16, v51
	v_fma_f16 v41, v24, v25, -v41
	v_fma_f16 v42, v23, v26, -v42
	v_fmac_f16_e32 v36, v45, v27
	v_fma_f16 v40, v22, v27, -v59
	v_fmac_f16_e32 v37, v44, v28
	v_fma_f16 v44, v21, v28, -v60
	v_fma_f16 v17, v17, v29, -v61
	v_mul_f16_e32 v22, v5, v63
	v_mul_f16_e32 v21, v32, v64
	;; [unrolled: 1-line block ×6, first 2 shown]
	v_fma_f16 v28, v5, v48, -v6
	v_add_f16_e32 v5, v35, v39
	v_add_f16_e32 v6, v34, v38
	v_mul_f16_e32 v24, v56, v66
	v_mul_f16_e32 v23, v33, v65
	;; [unrolled: 1-line block ×3, first 2 shown]
	v_fmac_f16_e32 v21, v16, v49
	v_fma_f16 v29, v32, v49, -v27
	v_fma_f16 v27, v33, v50, -v30
	v_fmac_f16_e32 v25, v14, v52
	v_fma_f16 v14, v31, v52, -v45
	v_add_f16_e32 v16, v36, v37
	v_sub_f16_e32 v31, v42, v17
	v_sub_f16_e32 v32, v44, v40
	v_add_f16_e32 v33, v6, v5
	v_fmac_f16_e32 v24, v15, v51
	v_sub_f16_e32 v15, v41, v2
	v_fma_f16 v30, v56, v51, -v43
	v_sub_f16_e32 v43, v6, v5
	v_sub_f16_e32 v5, v5, v16
	;; [unrolled: 1-line block ×3, first 2 shown]
	v_add_f16_e32 v45, v32, v31
	v_sub_f16_e32 v47, v32, v31
	v_add_f16_e32 v16, v16, v33
	v_sub_f16_e32 v31, v31, v15
	v_sub_f16_e32 v32, v15, v32
	v_add_f16_e32 v15, v45, v15
	v_mul_f16_e32 v5, 0x3a52, v5
	v_mul_f16_e32 v45, 0x3846, v47
	v_add_f16_e32 v1, v1, v16
	v_mul_f16_e32 v47, 0xbb00, v31
	v_mul_f16_e32 v33, 0x2b26, v6
	v_lshrrev_b32_e32 v68, 16, v53
	v_fmac_f16_e32 v22, v54, v48
	v_fmamk_f16 v6, v6, 0x2b26, v5
	v_fmamk_f16 v48, v32, 0xb574, v45
	;; [unrolled: 1-line block ×3, first 2 shown]
	v_fma_f16 v32, v32, 0x3574, -v47
	v_fma_f16 v5, v43, 0xb9e0, -v5
	;; [unrolled: 1-line block ×4, first 2 shown]
	v_mul_f16_e32 v26, v58, v68
	v_mul_f16_e32 v46, v57, v68
	v_fmac_f16_e32 v48, 0xb70e, v15
	v_add_f16_e32 v6, v6, v16
	v_fmac_f16_e32 v32, 0xb70e, v15
	v_add_f16_e32 v5, v5, v16
	;; [unrolled: 2-line block ×3, first 2 shown]
	v_fmac_f16_e32 v23, v55, v50
	v_fmac_f16_e32 v26, v57, v53
	v_fma_f16 v31, v58, v53, -v46
	v_add_f16_e32 v16, v48, v6
	v_add_f16_e32 v33, v32, v5
	v_sub_f16_e32 v43, v15, v45
	v_add_f16_e32 v15, v45, v15
	v_sub_f16_e32 v5, v5, v32
	v_sub_f16_e32 v6, v6, v48
	ds_store_b16 v20, v1
	ds_store_b16 v20, v16 offset:34
	ds_store_b16 v20, v33 offset:68
	;; [unrolled: 1-line block ×6, first 2 shown]
	s_and_saveexec_b32 s1, s0
	s_cbranch_execz .LBB0_23
; %bb.22:
	v_add_f16_e32 v1, v22, v26
	v_add_f16_e32 v5, v21, v25
	;; [unrolled: 1-line block ×3, first 2 shown]
	v_sub_f16_e32 v16, v30, v27
	v_sub_f16_e32 v33, v29, v14
	;; [unrolled: 1-line block ×3, first 2 shown]
	v_add_f16_e32 v32, v5, v1
	v_sub_f16_e32 v43, v1, v6
	v_sub_f16_e32 v45, v6, v5
	;; [unrolled: 1-line block ×4, first 2 shown]
	v_add_f16_e32 v6, v6, v32
	v_sub_f16_e32 v32, v16, v33
	v_add_f16_e32 v16, v16, v33
	v_sub_f16_e32 v33, v33, v15
	v_mul_f16_e32 v5, 0x3a52, v43
	v_add_f16_e32 v3, v3, v6
	v_mul_f16_e32 v32, 0x3846, v32
	v_add_f16_e32 v15, v16, v15
	v_mul_f16_e32 v43, 0xbb00, v33
	v_fmamk_f16 v16, v45, 0x2b26, v5
	v_mul_f16_e32 v45, 0x2b26, v45
	v_fmamk_f16 v6, v6, 0xbcab, v3
	v_fmamk_f16 v47, v46, 0xb574, v32
	v_fma_f16 v5, v1, 0xb9e0, -v5
	v_fma_f16 v43, v46, 0x3574, -v43
	;; [unrolled: 1-line block ×4, first 2 shown]
	v_mul_u32_u24_e32 v33, 0xee, v19
	v_add_f16_e32 v16, v16, v6
	v_fmac_f16_e32 v47, 0xb70e, v15
	v_add_f16_e32 v5, v5, v6
	v_fmac_f16_e32 v43, 0xb70e, v15
	v_fmac_f16_e32 v32, 0xb70e, v15
	v_add_f16_e32 v1, v1, v6
	v_add3_u32 v15, 0, v33, v18
	v_sub_f16_e32 v45, v16, v47
	v_add_f16_e32 v16, v47, v16
	v_sub_f16_e32 v6, v5, v43
	v_add_f16_e32 v5, v43, v5
	;; [unrolled: 2-line block ×3, first 2 shown]
	ds_store_b16 v15, v3
	ds_store_b16 v15, v16 offset:34
	ds_store_b16 v15, v5 offset:68
	;; [unrolled: 1-line block ×6, first 2 shown]
.LBB0_23:
	s_wait_alu 0xfffe
	s_or_b32 exec_lo, exec_lo, s1
	v_add_f16_e32 v1, v41, v2
	v_add_f16_e32 v2, v42, v17
	v_sub_f16_e32 v3, v35, v39
	v_add_f16_e32 v5, v40, v44
	v_sub_f16_e32 v6, v34, v38
	v_sub_f16_e32 v15, v37, v36
	v_add_f16_e32 v16, v2, v1
	v_sub_f16_e32 v17, v2, v1
	v_sub_f16_e32 v1, v1, v5
	;; [unrolled: 1-line block ×3, first 2 shown]
	v_add_f16_e32 v32, v15, v6
	v_add_f16_e32 v5, v5, v16
	v_sub_f16_e32 v16, v15, v6
	v_sub_f16_e32 v6, v6, v3
	;; [unrolled: 1-line block ×3, first 2 shown]
	v_add_f16_e32 v3, v32, v3
	v_add_f16_e32 v32, v4, v5
	v_mul_f16_e32 v1, 0x3a52, v1
	v_mul_f16_e32 v4, 0x2b26, v2
	;; [unrolled: 1-line block ×4, first 2 shown]
	v_fmamk_f16 v5, v5, 0xbcab, v32
	v_fmamk_f16 v2, v2, 0x2b26, v1
	v_fma_f16 v4, v17, 0x39e0, -v4
	v_fma_f16 v1, v17, 0xb9e0, -v1
	v_fmamk_f16 v34, v15, 0xb574, v16
	v_fma_f16 v35, v6, 0xbb00, -v16
	v_fma_f16 v33, v15, 0x3574, -v33
	v_add_f16_e32 v36, v2, v5
	v_add_f16_e32 v37, v4, v5
	;; [unrolled: 1-line block ×3, first 2 shown]
	v_fmac_f16_e32 v34, 0xb70e, v3
	v_fmac_f16_e32 v35, 0xb70e, v3
	v_fmac_f16_e32 v33, 0xb70e, v3
	global_wb scope:SCOPE_SE
	s_wait_dscnt 0x0
	s_barrier_signal -1
	s_barrier_wait -1
	global_inv scope:SCOPE_SE
	ds_load_u16 v1, v0
	ds_load_u16 v2, v0 offset:238
	ds_load_u16 v4, v0 offset:476
	;; [unrolled: 1-line block ×8, first 2 shown]
	v_sub_f16_e32 v39, v36, v34
	v_sub_f16_e32 v40, v38, v33
	v_add_f16_e32 v41, v35, v37
	v_sub_f16_e32 v35, v37, v35
	v_add_f16_e32 v33, v33, v38
	v_add_f16_e32 v34, v34, v36
	global_wb scope:SCOPE_SE
	s_wait_dscnt 0x0
	s_barrier_signal -1
	s_barrier_wait -1
	global_inv scope:SCOPE_SE
	ds_store_b16 v20, v32
	ds_store_b16 v20, v39 offset:34
	ds_store_b16 v20, v40 offset:68
	;; [unrolled: 1-line block ×6, first 2 shown]
	s_and_saveexec_b32 s1, s0
	s_cbranch_execz .LBB0_25
; %bb.24:
	v_add_f16_e32 v20, v28, v31
	v_add_f16_e32 v14, v29, v14
	v_sub_f16_e32 v22, v22, v26
	v_add_f16_e32 v26, v27, v30
	v_sub_f16_e32 v21, v21, v25
	v_sub_f16_e32 v23, v24, v23
	v_add_f16_e32 v24, v14, v20
	v_sub_f16_e32 v25, v14, v20
	v_sub_f16_e32 v20, v20, v26
	;; [unrolled: 1-line block ×3, first 2 shown]
	v_add_f16_e32 v27, v23, v21
	v_add_f16_e32 v24, v26, v24
	v_sub_f16_e32 v26, v23, v21
	v_sub_f16_e32 v21, v21, v22
	v_sub_f16_e32 v23, v22, v23
	v_add_f16_e32 v22, v27, v22
	v_add_f16_e32 v7, v7, v24
	v_mul_f16_e32 v20, 0x3a52, v20
	v_mul_f16_e32 v27, 0x2b26, v14
	;; [unrolled: 1-line block ×4, first 2 shown]
	v_fmamk_f16 v24, v24, 0xbcab, v7
	v_fmamk_f16 v14, v14, 0x2b26, v20
	v_fma_f16 v27, v25, 0x39e0, -v27
	v_fma_f16 v20, v25, 0xb9e0, -v20
	v_fmamk_f16 v25, v23, 0xb574, v26
	v_fma_f16 v23, v23, 0x3574, -v28
	v_fma_f16 v21, v21, 0xbb00, -v26
	v_mul_u32_u24_e32 v19, 0xee, v19
	v_add_f16_e32 v14, v14, v24
	v_fmac_f16_e32 v25, 0xb70e, v22
	v_add_f16_e32 v20, v20, v24
	v_fmac_f16_e32 v23, 0xb70e, v22
	;; [unrolled: 2-line block ×3, first 2 shown]
	v_add3_u32 v18, 0, v19, v18
	v_sub_f16_e32 v22, v14, v25
	v_sub_f16_e32 v24, v20, v23
	v_add_f16_e32 v20, v23, v20
	v_add_f16_e32 v19, v21, v26
	v_sub_f16_e32 v21, v26, v21
	v_add_f16_e32 v14, v25, v14
	ds_store_b16 v18, v7
	ds_store_b16 v18, v22 offset:34
	ds_store_b16 v18, v24 offset:68
	ds_store_b16 v18, v19 offset:102
	ds_store_b16 v18, v21 offset:136
	ds_store_b16 v18, v20 offset:170
	ds_store_b16 v18, v14 offset:204
.LBB0_25:
	s_wait_alu 0xfffe
	s_or_b32 exec_lo, exec_lo, s1
	global_wb scope:SCOPE_SE
	s_wait_dscnt 0x0
	s_barrier_signal -1
	s_barrier_wait -1
	global_inv scope:SCOPE_SE
	s_and_saveexec_b32 s0, vcc_lo
	s_cbranch_execz .LBB0_27
; %bb.26:
	v_dual_mov_b32 v26, 0 :: v_dual_lshlrev_b32 v25, 3, v12
	v_mul_lo_u32 v7, s3, v10
	v_mul_lo_u32 v12, s2, v11
	v_mad_co_u64_u32 v[10:11], null, s2, v10, 0
	s_delay_alu instid0(VALU_DEP_4) | instskip(SKIP_1) | instid1(VALU_DEP_3)
	v_lshlrev_b64_e32 v[18:19], 2, v[25:26]
	v_mov_b32_e32 v14, v26
	v_add3_u32 v11, v11, v12, v7
	s_delay_alu instid0(VALU_DEP_3) | instskip(SKIP_1) | instid1(VALU_DEP_4)
	v_add_co_u32 v22, vcc_lo, s8, v18
	s_wait_alu 0xfffd
	v_add_co_ci_u32_e32 v23, vcc_lo, s9, v19, vcc_lo
	s_delay_alu instid0(VALU_DEP_3)
	v_lshlrev_b64_e32 v[10:11], 2, v[10:11]
	s_clause 0x1
	global_load_b128 v[18:21], v[22:23], off offset:408
	global_load_b128 v[22:25], v[22:23], off offset:424
	v_lshlrev_b64_e32 v[7:8], 2, v[8:9]
	ds_load_u16 v27, v0 offset:1904
	v_add_co_u32 v26, vcc_lo, s6, v10
	s_wait_alu 0xfffd
	v_add_co_ci_u32_e32 v11, vcc_lo, s7, v11, vcc_lo
	ds_load_u16 v12, v0 offset:1666
	ds_load_u16 v28, v0 offset:952
	;; [unrolled: 1-line block ×4, first 2 shown]
	v_add_co_u32 v7, vcc_lo, v26, v7
	ds_load_u16 v31, v0 offset:714
	ds_load_u16 v32, v0 offset:476
	s_wait_alu 0xfffd
	v_add_co_ci_u32_e32 v8, vcc_lo, v11, v8, vcc_lo
	ds_load_u16 v11, v0 offset:238
	ds_load_u16 v0, v0
	v_lshlrev_b64_e32 v[9:10], 2, v[13:14]
	s_delay_alu instid0(VALU_DEP_1) | instskip(SKIP_1) | instid1(VALU_DEP_2)
	v_add_co_u32 v7, vcc_lo, v7, v9
	s_wait_alu 0xfffd
	v_add_co_ci_u32_e32 v8, vcc_lo, v8, v10, vcc_lo
	s_wait_loadcnt 0x1
	v_lshrrev_b32_e32 v9, 16, v18
	v_lshrrev_b32_e32 v10, 16, v19
	;; [unrolled: 1-line block ×3, first 2 shown]
	s_wait_loadcnt 0x0
	v_lshrrev_b32_e32 v26, 16, v25
	v_lshrrev_b32_e32 v33, 16, v22
	;; [unrolled: 1-line block ×5, first 2 shown]
	v_mul_f16_e32 v36, v2, v9
	v_mul_f16_e32 v37, v6, v26
	;; [unrolled: 1-line block ×6, first 2 shown]
	s_wait_dscnt 0x7
	v_mul_f16_e32 v35, v12, v35
	s_wait_dscnt 0x2
	v_mul_f16_e32 v10, v32, v10
	v_mul_f16_e32 v26, v27, v26
	s_wait_dscnt 0x1
	v_mul_f16_e32 v9, v11, v9
	v_mul_f16_e32 v38, v3, v13
	;; [unrolled: 1-line block ×7, first 2 shown]
	v_fma_f16 v11, v11, v18, -v36
	v_fma_f16 v27, v27, v25, -v37
	;; [unrolled: 1-line block ×6, first 2 shown]
	v_fmac_f16_e32 v35, v17, v24
	v_fmac_f16_e32 v10, v4, v19
	;; [unrolled: 1-line block ×4, first 2 shown]
	v_fma_f16 v31, v31, v20, -v38
	v_fma_f16 v29, v29, v23, -v39
	v_fmac_f16_e32 v14, v15, v21
	v_fmac_f16_e32 v34, v5, v23
	;; [unrolled: 1-line block ×3, first 2 shown]
	v_sub_f16_e32 v2, v11, v27
	v_sub_f16_e32 v4, v32, v12
	v_sub_f16_e32 v5, v28, v30
	v_add_f16_e32 v15, v10, v35
	v_add_f16_e32 v17, v9, v26
	v_add_f16_e32 v12, v32, v12
	v_add_f16_e32 v11, v11, v27
	v_fmac_f16_e32 v33, v16, v22
	v_add_f16_e32 v16, v13, v34
	v_sub_f16_e32 v9, v9, v26
	v_add_f16_e32 v20, v31, v29
	v_mul_f16_e32 v21, 0x3be1, v5
	v_add_f16_e32 v25, v11, v12
	v_add_f16_e32 v26, v17, v15
	v_sub_f16_e32 v3, v31, v29
	v_sub_f16_e32 v10, v10, v35
	v_mul_f16_e32 v35, 0xb924, v5
	v_mul_f16_e32 v38, 0x3be1, v4
	v_fma_f16 v21, v4, 0xb924, -v21
	v_add_f16_e32 v40, v20, v25
	v_add_f16_e32 v41, v16, v26
	;; [unrolled: 1-line block ×3, first 2 shown]
	v_sub_f16_e32 v18, v14, v33
	v_add_f16_e32 v19, v28, v30
	v_fmac_f16_e32 v35, 0x3be1, v2
	v_fmac_f16_e32 v38, 0x3924, v2
	;; [unrolled: 1-line block ×3, first 2 shown]
	v_add_f16_e32 v28, v40, v28
	v_add_f16_e32 v14, v41, v14
	;; [unrolled: 1-line block ×3, first 2 shown]
	v_fmac_f16_e32 v35, 0xbaee, v3
	v_fmac_f16_e32 v38, 0x3aee, v3
	;; [unrolled: 1-line block ×3, first 2 shown]
	v_add_f16_e32 v2, v28, v30
	v_add_f16_e32 v3, v14, v33
	v_sub_f16_e32 v13, v13, v34
	v_fmamk_f16 v22, v15, 0x3a21, v1
	v_mul_f16_e32 v23, 0x3be1, v18
	s_wait_dscnt 0x0
	v_fmamk_f16 v24, v12, 0x3a21, v0
	v_add_f16_e32 v27, v1, v16
	v_add_f16_e32 v32, v20, v0
	v_fmamk_f16 v34, v6, 0x3a21, v1
	v_mul_f16_e32 v36, 0xb924, v18
	v_fmamk_f16 v37, v19, 0x3a21, v0
	v_mul_f16_e32 v39, 0x3be1, v10
	v_add_f16_e32 v2, v0, v2
	v_add_f16_e32 v3, v1, v3
	v_fmac_f16_e32 v1, 0x3a21, v17
	v_fmac_f16_e32 v0, 0x3a21, v11
	;; [unrolled: 1-line block ×3, first 2 shown]
	v_fma_f16 v23, v10, 0xb924, -v23
	v_fmac_f16_e32 v24, 0x318f, v19
	v_fmac_f16_e32 v34, 0x318f, v17
	;; [unrolled: 1-line block ×7, first 2 shown]
	v_add_f16_e32 v31, v9, v18
	v_add_f16_e32 v26, v26, v6
	;; [unrolled: 1-line block ×3, first 2 shown]
	v_fmac_f16_e32 v22, -0.5, v16
	v_fmac_f16_e32 v23, 0x3aee, v13
	v_fmac_f16_e32 v24, -0.5, v20
	v_fmac_f16_e32 v34, -0.5, v16
	v_fmac_f16_e32 v36, 0xbaee, v13
	v_fmac_f16_e32 v37, -0.5, v20
	v_fmac_f16_e32 v39, 0x3aee, v13
	v_fmac_f16_e32 v1, -0.5, v16
	v_fmac_f16_e32 v0, -0.5, v20
	v_sub_f16_e32 v29, v29, v4
	v_sub_f16_e32 v31, v31, v10
	v_fmac_f16_e32 v27, -0.5, v26
	v_fmac_f16_e32 v32, -0.5, v25
	v_fmac_f16_e32 v22, 0xbb84, v17
	v_fmac_f16_e32 v23, 0x3579, v9
	;; [unrolled: 1-line block ×11, first 2 shown]
	v_mul_f16_e32 v26, 0x3aee, v29
	v_mul_f16_e32 v40, 0x3aee, v31
	v_fmac_f16_e32 v27, 0xbaee, v29
	v_fmac_f16_e32 v32, 0x3aee, v31
	v_sub_f16_e32 v4, v22, v21
	v_add_f16_e32 v5, v23, v24
	v_sub_f16_e32 v11, v34, v35
	v_add_f16_e32 v12, v36, v37
	;; [unrolled: 2-line block ×3, first 2 shown]
	v_fma_f16 v9, 2.0, v26, v27
	v_fma_f16 v10, -2.0, v40, v32
	v_fma_f16 v14, 2.0, v21, v4
	v_fma_f16 v6, -2.0, v23, v5
	;; [unrolled: 2-line block ×3, first 2 shown]
	v_pack_b32_f16 v2, v3, v2
	v_pack_b32_f16 v3, v11, v12
	;; [unrolled: 1-line block ×3, first 2 shown]
	v_fma_f16 v5, 2.0, v38, v1
	v_fma_f16 v11, -2.0, v39, v0
	v_pack_b32_f16 v0, v1, v0
	v_pack_b32_f16 v13, v27, v32
	;; [unrolled: 1-line block ×6, first 2 shown]
	s_clause 0x8
	global_store_b32 v[7:8], v2, off
	global_store_b32 v[7:8], v0, off offset:476
	global_store_b32 v[7:8], v3, off offset:952
	;; [unrolled: 1-line block ×8, first 2 shown]
.LBB0_27:
	s_nop 0
	s_sendmsg sendmsg(MSG_DEALLOC_VGPRS)
	s_endpgm
	.section	.rodata,"a",@progbits
	.p2align	6, 0x0
	.amdhsa_kernel fft_rtc_back_len1071_factors_17_7_9_wgs_119_tpt_119_halfLds_half_op_CI_CI_unitstride_sbrr_dirReg
		.amdhsa_group_segment_fixed_size 0
		.amdhsa_private_segment_fixed_size 0
		.amdhsa_kernarg_size 104
		.amdhsa_user_sgpr_count 2
		.amdhsa_user_sgpr_dispatch_ptr 0
		.amdhsa_user_sgpr_queue_ptr 0
		.amdhsa_user_sgpr_kernarg_segment_ptr 1
		.amdhsa_user_sgpr_dispatch_id 0
		.amdhsa_user_sgpr_private_segment_size 0
		.amdhsa_wavefront_size32 1
		.amdhsa_uses_dynamic_stack 0
		.amdhsa_enable_private_segment 0
		.amdhsa_system_sgpr_workgroup_id_x 1
		.amdhsa_system_sgpr_workgroup_id_y 0
		.amdhsa_system_sgpr_workgroup_id_z 0
		.amdhsa_system_sgpr_workgroup_info 0
		.amdhsa_system_vgpr_workitem_id 0
		.amdhsa_next_free_vgpr 121
		.amdhsa_next_free_sgpr 39
		.amdhsa_reserve_vcc 1
		.amdhsa_float_round_mode_32 0
		.amdhsa_float_round_mode_16_64 0
		.amdhsa_float_denorm_mode_32 3
		.amdhsa_float_denorm_mode_16_64 3
		.amdhsa_fp16_overflow 0
		.amdhsa_workgroup_processor_mode 1
		.amdhsa_memory_ordered 1
		.amdhsa_forward_progress 0
		.amdhsa_round_robin_scheduling 0
		.amdhsa_exception_fp_ieee_invalid_op 0
		.amdhsa_exception_fp_denorm_src 0
		.amdhsa_exception_fp_ieee_div_zero 0
		.amdhsa_exception_fp_ieee_overflow 0
		.amdhsa_exception_fp_ieee_underflow 0
		.amdhsa_exception_fp_ieee_inexact 0
		.amdhsa_exception_int_div_zero 0
	.end_amdhsa_kernel
	.text
.Lfunc_end0:
	.size	fft_rtc_back_len1071_factors_17_7_9_wgs_119_tpt_119_halfLds_half_op_CI_CI_unitstride_sbrr_dirReg, .Lfunc_end0-fft_rtc_back_len1071_factors_17_7_9_wgs_119_tpt_119_halfLds_half_op_CI_CI_unitstride_sbrr_dirReg
                                        ; -- End function
	.section	.AMDGPU.csdata,"",@progbits
; Kernel info:
; codeLenInByte = 11608
; NumSgprs: 41
; NumVgprs: 121
; ScratchSize: 0
; MemoryBound: 0
; FloatMode: 240
; IeeeMode: 1
; LDSByteSize: 0 bytes/workgroup (compile time only)
; SGPRBlocks: 5
; VGPRBlocks: 15
; NumSGPRsForWavesPerEU: 41
; NumVGPRsForWavesPerEU: 121
; Occupancy: 10
; WaveLimiterHint : 1
; COMPUTE_PGM_RSRC2:SCRATCH_EN: 0
; COMPUTE_PGM_RSRC2:USER_SGPR: 2
; COMPUTE_PGM_RSRC2:TRAP_HANDLER: 0
; COMPUTE_PGM_RSRC2:TGID_X_EN: 1
; COMPUTE_PGM_RSRC2:TGID_Y_EN: 0
; COMPUTE_PGM_RSRC2:TGID_Z_EN: 0
; COMPUTE_PGM_RSRC2:TIDIG_COMP_CNT: 0
	.text
	.p2alignl 7, 3214868480
	.fill 96, 4, 3214868480
	.type	__hip_cuid_ef34f5de5c1d52bb,@object ; @__hip_cuid_ef34f5de5c1d52bb
	.section	.bss,"aw",@nobits
	.globl	__hip_cuid_ef34f5de5c1d52bb
__hip_cuid_ef34f5de5c1d52bb:
	.byte	0                               ; 0x0
	.size	__hip_cuid_ef34f5de5c1d52bb, 1

	.ident	"AMD clang version 19.0.0git (https://github.com/RadeonOpenCompute/llvm-project roc-6.4.0 25133 c7fe45cf4b819c5991fe208aaa96edf142730f1d)"
	.section	".note.GNU-stack","",@progbits
	.addrsig
	.addrsig_sym __hip_cuid_ef34f5de5c1d52bb
	.amdgpu_metadata
---
amdhsa.kernels:
  - .args:
      - .actual_access:  read_only
        .address_space:  global
        .offset:         0
        .size:           8
        .value_kind:     global_buffer
      - .offset:         8
        .size:           8
        .value_kind:     by_value
      - .actual_access:  read_only
        .address_space:  global
        .offset:         16
        .size:           8
        .value_kind:     global_buffer
      - .actual_access:  read_only
        .address_space:  global
        .offset:         24
        .size:           8
        .value_kind:     global_buffer
      - .actual_access:  read_only
        .address_space:  global
        .offset:         32
        .size:           8
        .value_kind:     global_buffer
      - .offset:         40
        .size:           8
        .value_kind:     by_value
      - .actual_access:  read_only
        .address_space:  global
        .offset:         48
        .size:           8
        .value_kind:     global_buffer
      - .actual_access:  read_only
        .address_space:  global
        .offset:         56
        .size:           8
        .value_kind:     global_buffer
      - .offset:         64
        .size:           4
        .value_kind:     by_value
      - .actual_access:  read_only
        .address_space:  global
        .offset:         72
        .size:           8
        .value_kind:     global_buffer
      - .actual_access:  read_only
        .address_space:  global
        .offset:         80
        .size:           8
        .value_kind:     global_buffer
      - .actual_access:  read_only
        .address_space:  global
        .offset:         88
        .size:           8
        .value_kind:     global_buffer
      - .actual_access:  write_only
        .address_space:  global
        .offset:         96
        .size:           8
        .value_kind:     global_buffer
    .group_segment_fixed_size: 0
    .kernarg_segment_align: 8
    .kernarg_segment_size: 104
    .language:       OpenCL C
    .language_version:
      - 2
      - 0
    .max_flat_workgroup_size: 119
    .name:           fft_rtc_back_len1071_factors_17_7_9_wgs_119_tpt_119_halfLds_half_op_CI_CI_unitstride_sbrr_dirReg
    .private_segment_fixed_size: 0
    .sgpr_count:     41
    .sgpr_spill_count: 0
    .symbol:         fft_rtc_back_len1071_factors_17_7_9_wgs_119_tpt_119_halfLds_half_op_CI_CI_unitstride_sbrr_dirReg.kd
    .uniform_work_group_size: 1
    .uses_dynamic_stack: false
    .vgpr_count:     121
    .vgpr_spill_count: 0
    .wavefront_size: 32
    .workgroup_processor_mode: 1
amdhsa.target:   amdgcn-amd-amdhsa--gfx1201
amdhsa.version:
  - 1
  - 2
...

	.end_amdgpu_metadata
